;; amdgpu-corpus repo=pytorch/pytorch kind=compiled arch=gfx906 opt=O3
	.amdgcn_target "amdgcn-amd-amdhsa--gfx906"
	.amdhsa_code_object_version 6
	.section	.text._ZN2at6native12_GLOBAL__N_137upsample_bicubic2d_out_frame_parallelIddEEviT0_S3_bN5torch10headeronly6detail27GenericPackedTensorAccessorINS6_14TensorAccessorIN3c108ArrayRefIlEEKT_Lm3ENS5_16DefaultPtrTraitsElEENS_6detail16IndexBoundsCheckILm4ElEESD_Lm4ESE_lEENS7_INS8_ISB_SC_Lm3ESE_lEESI_SC_Lm4ESE_lEE,"axG",@progbits,_ZN2at6native12_GLOBAL__N_137upsample_bicubic2d_out_frame_parallelIddEEviT0_S3_bN5torch10headeronly6detail27GenericPackedTensorAccessorINS6_14TensorAccessorIN3c108ArrayRefIlEEKT_Lm3ENS5_16DefaultPtrTraitsElEENS_6detail16IndexBoundsCheckILm4ElEESD_Lm4ESE_lEENS7_INS8_ISB_SC_Lm3ESE_lEESI_SC_Lm4ESE_lEE,comdat
	.globl	_ZN2at6native12_GLOBAL__N_137upsample_bicubic2d_out_frame_parallelIddEEviT0_S3_bN5torch10headeronly6detail27GenericPackedTensorAccessorINS6_14TensorAccessorIN3c108ArrayRefIlEEKT_Lm3ENS5_16DefaultPtrTraitsElEENS_6detail16IndexBoundsCheckILm4ElEESD_Lm4ESE_lEENS7_INS8_ISB_SC_Lm3ESE_lEESI_SC_Lm4ESE_lEE ; -- Begin function _ZN2at6native12_GLOBAL__N_137upsample_bicubic2d_out_frame_parallelIddEEviT0_S3_bN5torch10headeronly6detail27GenericPackedTensorAccessorINS6_14TensorAccessorIN3c108ArrayRefIlEEKT_Lm3ENS5_16DefaultPtrTraitsElEENS_6detail16IndexBoundsCheckILm4ElEESD_Lm4ESE_lEENS7_INS8_ISB_SC_Lm3ESE_lEESI_SC_Lm4ESE_lEE
	.p2align	8
	.type	_ZN2at6native12_GLOBAL__N_137upsample_bicubic2d_out_frame_parallelIddEEviT0_S3_bN5torch10headeronly6detail27GenericPackedTensorAccessorINS6_14TensorAccessorIN3c108ArrayRefIlEEKT_Lm3ENS5_16DefaultPtrTraitsElEENS_6detail16IndexBoundsCheckILm4ElEESD_Lm4ESE_lEENS7_INS8_ISB_SC_Lm3ESE_lEESI_SC_Lm4ESE_lEE,@function
_ZN2at6native12_GLOBAL__N_137upsample_bicubic2d_out_frame_parallelIddEEviT0_S3_bN5torch10headeronly6detail27GenericPackedTensorAccessorINS6_14TensorAccessorIN3c108ArrayRefIlEEKT_Lm3ENS5_16DefaultPtrTraitsElEENS_6detail16IndexBoundsCheckILm4ElEESD_Lm4ESE_lEENS7_INS8_ISB_SC_Lm3ESE_lEESI_SC_Lm4ESE_lEE: ; @_ZN2at6native12_GLOBAL__N_137upsample_bicubic2d_out_frame_parallelIddEEviT0_S3_bN5torch10headeronly6detail27GenericPackedTensorAccessorINS6_14TensorAccessorIN3c108ArrayRefIlEEKT_Lm3ENS5_16DefaultPtrTraitsElEENS_6detail16IndexBoundsCheckILm4ElEESD_Lm4ESE_lEENS7_INS8_ISB_SC_Lm3ESE_lEESI_SC_Lm4ESE_lEE
; %bb.0:
	s_load_dword s0, s[4:5], 0xbc
	s_load_dword s1, s[4:5], 0x0
	s_add_u32 s34, s4, 0xb0
	s_addc_u32 s35, s5, 0
	s_waitcnt lgkmcnt(0)
	s_and_b32 s0, s0, 0xffff
	s_mul_i32 s6, s6, s0
	v_add_u32_e32 v0, s6, v0
	v_cmp_gt_i32_e32 vcc, s1, v0
	s_and_saveexec_b64 s[0:1], vcc
	s_cbranch_execz .LBB0_18
; %bb.1:
	s_load_dwordx4 s[0:3], s[4:5], 0x80
	v_sub_u32_e32 v3, 0, v0
	v_max_i32_e32 v3, v0, v3
	s_load_dwordx8 s[8:15], s[4:5], 0x28
	s_mov_b64 s[16:17], -1
	s_waitcnt lgkmcnt(0)
	s_abs_i32 s3, s2
	v_cvt_f32_u32_e32 v1, s3
	s_sub_i32 s1, 0, s3
	v_xor_b32_e32 v4, s2, v0
	s_cmp_lg_u32 s12, s0
	v_rcp_iflag_f32_e32 v1, v1
	s_mul_i32 s6, s10, s8
	v_mul_f32_e32 v1, 0x4f7ffffe, v1
	v_cvt_u32_f32_e32 v1, v1
	v_mul_lo_u32 v2, s1, v1
	s_cselect_b64 s[0:1], -1, 0
	s_cmp_lg_u32 s14, s2
	v_mul_hi_u32 v2, v1, v2
	v_add_u32_e32 v1, v1, v2
	v_mul_hi_u32 v1, v3, v1
	v_ashrrev_i32_e32 v2, 31, v4
	v_mul_lo_u32 v4, v1, s3
	v_add_u32_e32 v5, 1, v1
	v_sub_u32_e32 v3, v3, v4
	v_cmp_le_u32_e32 vcc, s3, v3
	v_subrev_u32_e32 v4, s3, v3
	v_cndmask_b32_e32 v1, v1, v5, vcc
	v_cndmask_b32_e32 v3, v3, v4, vcc
	v_add_u32_e32 v4, 1, v1
	v_cmp_le_u32_e32 vcc, s3, v3
	v_cndmask_b32_e32 v1, v1, v4, vcc
	v_xor_b32_e32 v1, v1, v2
	v_sub_u32_e32 v41, v1, v2
	v_mul_lo_u32 v1, v41, s2
	s_cselect_b64 s[2:3], -1, 0
	s_or_b64 s[0:1], s[2:3], s[0:1]
	s_and_b64 vcc, exec, s[0:1]
	v_sub_u32_e32 v40, v0, v1
	s_cbranch_vccz .LBB0_14
; %bb.2:
	s_load_dword s8, s[4:5], 0x18
	s_load_dwordx4 s[0:3], s[4:5], 0x8
	v_cvt_f64_i32_e32 v[2:3], v40
                                        ; implicit-def: $vgpr0_vgpr1
	s_waitcnt lgkmcnt(0)
	s_bitcmp1_b32 s8, 0
	s_cselect_b64 s[8:9], -1, 0
	s_xor_b64 s[8:9], s[8:9], -1
	s_and_b64 vcc, exec, s[8:9]
	s_cbranch_vccnz .LBB0_6
; %bb.3:
	s_andn2_b64 vcc, exec, s[16:17]
	s_cbranch_vccz .LBB0_7
.LBB0_4:
	v_cvt_f64_i32_e32 v[4:5], v41
	s_and_b64 vcc, exec, s[8:9]
	s_cbranch_vccz .LBB0_8
.LBB0_5:
	v_add_f64 v[2:3], v[4:5], 0.5
	v_fma_f64 v[2:3], s[0:1], v[2:3], -0.5
	s_cbranch_execz .LBB0_9
	s_branch .LBB0_10
.LBB0_6:
	v_add_f64 v[0:1], v[2:3], 0.5
	v_fma_f64 v[0:1], s[2:3], v[0:1], -0.5
	s_cbranch_execnz .LBB0_4
.LBB0_7:
	v_mul_f64 v[0:1], s[2:3], v[2:3]
	v_cvt_f64_i32_e32 v[4:5], v41
	s_and_b64 vcc, exec, s[8:9]
	s_cbranch_vccnz .LBB0_5
.LBB0_8:
                                        ; implicit-def: $vgpr2_vgpr3
.LBB0_9:
	v_mul_f64 v[2:3], s[0:1], v[4:5]
.LBB0_10:
	s_cmp_ge_i32 s7, s6
	s_cbranch_scc1 .LBB0_13
; %bb.11:
	v_cvt_f32_f64_e32 v4, v[0:1]
	v_cvt_f32_f64_e32 v5, v[2:3]
	s_load_dwordx8 s[16:23], s[4:5], 0x48
	s_add_i32 s2, s14, -1
	v_floor_f32_e32 v4, v4
	v_cvt_i32_f32_e32 v13, v4
	v_floor_f32_e32 v4, v5
	v_cvt_i32_f32_e32 v16, v4
	s_mov_b32 s8, 0
	v_cvt_f64_i32_e32 v[4:5], v13
	v_add_u32_e32 v6, -1, v13
	v_min_i32_e32 v6, s2, v6
	v_max_i32_e32 v7, 0, v6
	s_waitcnt lgkmcnt(0)
	v_mad_u64_u32 v[18:19], s[0:1], s22, v7, 0
	v_min_i32_e32 v6, s2, v13
	v_add_f64 v[4:5], v[0:1], -v[4:5]
	v_max_i32_e32 v10, 0, v6
	v_mad_u64_u32 v[20:21], s[0:1], s22, v10, 0
	v_cvt_f64_i32_e32 v[8:9], v16
	v_mov_b32_e32 v6, v19
	v_mad_u64_u32 v[6:7], s[0:1], s23, v7, v[6:7]
	v_mov_b32_e32 v7, v21
	v_mad_u64_u32 v[10:11], s[0:1], s23, v10, v[7:8]
	v_add_u32_e32 v0, 1, v13
	v_add_f64 v[11:12], v[2:3], -v[8:9]
	v_min_i32_e32 v0, s2, v0
	v_add_f64 v[1:2], v[4:5], 1.0
	v_max_i32_e32 v3, 0, v0
	v_add_u32_e32 v0, 2, v13
	v_min_i32_e32 v0, s2, v0
	v_mad_u64_u32 v[22:23], s[0:1], s22, v3, 0
	v_max_i32_e32 v9, 0, v0
	v_mad_u64_u32 v[24:25], s[0:1], s22, v9, 0
	v_mov_b32_e32 v0, v23
	v_mad_u64_u32 v[7:8], s[0:1], s23, v3, v[0:1]
	v_mov_b32_e32 v0, v25
	;; [unrolled: 2-line block ×3, first 2 shown]
	s_mov_b32 s0, 0
	v_mov_b32_e32 v14, 0x400e0000
	s_mov_b32 s1, 0xbfe80000
	v_fma_f64 v[26:27], v[1:2], s[0:1], v[13:14]
	v_add_f64 v[28:29], -v[4:5], 1.0
	v_add_f64 v[32:33], -v[11:12], 1.0
	s_mov_b32 s2, 0
	s_mov_b32 s3, 0xc0180000
	v_mov_b32_e32 v19, v6
	v_mov_b32_e32 v23, v7
	;; [unrolled: 1-line block ×3, first 2 shown]
	v_fma_f64 v[6:7], v[1:2], v[26:27], s[2:3]
	v_add_f64 v[8:9], v[28:29], 1.0
	v_add_f64 v[26:27], v[11:12], 1.0
	v_mov_b32_e32 v30, 0
	s_mov_b32 s9, 0x3ff40000
	v_mov_b32_e32 v31, 0xc0020000
	v_fma_f64 v[34:35], v[4:5], s[8:9], v[30:31]
	v_fma_f64 v[36:37], v[28:29], s[8:9], v[30:31]
	;; [unrolled: 1-line block ×4, first 2 shown]
	v_add_f64 v[46:47], v[32:33], 1.0
	v_fma_f64 v[38:39], v[8:9], s[0:1], v[13:14]
	v_fma_f64 v[42:43], v[26:27], s[0:1], v[13:14]
	s_load_dwordx8 s[24:31], s[4:5], 0x90
	v_mul_f64 v[34:35], v[4:5], v[34:35]
	v_mul_f64 v[36:37], v[28:29], v[36:37]
	;; [unrolled: 1-line block ×4, first 2 shown]
	v_fma_f64 v[14:15], v[46:47], s[0:1], v[13:14]
	v_fma_f64 v[38:39], v[8:9], v[38:39], s[2:3]
	;; [unrolled: 1-line block ×3, first 2 shown]
	s_mov_b32 s14, 0
	s_mov_b32 s15, 0x40080000
	v_ashrrev_i32_e32 v17, 31, v41
	v_fma_f64 v[0:1], v[1:2], v[6:7], s[14:15]
	v_fma_f64 v[2:3], v[4:5], v[34:35], 1.0
	v_fma_f64 v[4:5], v[28:29], v[36:37], 1.0
	s_waitcnt lgkmcnt(0)
	v_mul_lo_u32 v29, s28, v17
	v_ashrrev_i32_e32 v17, 31, v40
	v_mov_b32_e32 v21, v10
	v_fma_f64 v[10:11], v[11:12], v[44:45], 1.0
	v_fma_f64 v[12:13], v[32:33], v[30:31], 1.0
	v_fma_f64 v[14:15], v[46:47], v[14:15], s[2:3]
	v_mul_lo_u32 v31, s30, v17
	s_add_i32 s2, s12, -1
	v_add_u32_e32 v17, -1, v16
	v_min_i32_e32 v17, s2, v17
	v_max_i32_e32 v28, 0, v17
	v_fma_f64 v[6:7], v[8:9], v[38:39], s[14:15]
	v_fma_f64 v[8:9], v[26:27], v[42:43], s[14:15]
	v_mad_u64_u32 v[26:27], s[0:1], s20, v28, 0
	v_mul_lo_u32 v36, s31, v40
	v_mad_u64_u32 v[34:35], s[0:1], s30, v40, 0
	v_mul_lo_u32 v30, s29, v41
	v_mad_u64_u32 v[32:33], s[0:1], s28, v41, 0
	v_mov_b32_e32 v17, v27
	v_mad_u64_u32 v[27:28], s[0:1], s21, v28, v[17:18]
	v_min_i32_e32 v17, s2, v16
	v_add3_u32 v35, v35, v31, v36
	v_max_i32_e32 v36, 0, v17
	v_add_u32_e32 v17, 1, v16
	v_min_i32_e32 v17, s2, v17
	v_add3_u32 v33, v33, v29, v30
	v_mad_u64_u32 v[28:29], s[0:1], s20, v36, 0
	v_max_i32_e32 v39, 0, v17
	v_mad_u64_u32 v[30:31], s[0:1], s20, v39, 0
	v_mov_b32_e32 v17, v29
	s_abs_i32 s8, s10
	v_mad_u64_u32 v[36:37], s[0:1], s21, v36, v[17:18]
	v_mov_b32_e32 v17, v31
	v_add_u32_e32 v16, 2, v16
	v_cvt_f32_u32_e32 v31, s8
	v_min_i32_e32 v16, s2, v16
	v_max_i32_e32 v29, 0, v16
	v_mad_u64_u32 v[37:38], s[0:1], s20, v29, 0
	v_rcp_iflag_f32_e32 v31, v31
	v_mad_u64_u32 v[16:17], s[0:1], s21, v39, v[17:18]
	v_mov_b32_e32 v17, v38
	v_mad_u64_u32 v[38:39], s[0:1], s21, v29, v[17:18]
	v_mul_f32_e32 v17, 0x4f7ffffe, v31
	v_fma_f64 v[14:15], v[46:47], v[14:15], s[14:15]
	v_cvt_u32_f32_e32 v17, v17
	s_load_dwordx2 s[0:1], s[4:5], 0x20
	s_load_dwordx2 s[2:3], s[4:5], 0x68
	s_load_dword s9, s[34:35], 0x8
	s_sub_i32 s13, 0, s8
	v_mov_b32_e32 v29, v36
	v_readfirstlane_b32 s12, v17
	v_mov_b32_e32 v31, v16
	s_mul_i32 s13, s13, s12
	s_mul_hi_u32 s13, s12, s13
	v_lshlrev_b64 v[16:17], 3, v[26:27]
	v_lshlrev_b64 v[18:19], 3, v[18:19]
	;; [unrolled: 1-line block ×10, first 2 shown]
	s_ashr_i32 s11, s10, 31
	s_add_i32 s12, s12, s13
	s_sub_i32 s13, 0, s10
	s_mov_b32 s14, s7
.LBB0_12:                               ; =>This Inner Loop Header: Depth=1
	s_abs_i32 s20, s14
	s_mul_hi_u32 s21, s20, s12
	s_mul_i32 s22, s21, s8
	s_ashr_i32 s15, s14, 31
	s_sub_i32 s20, s20, s22
	s_xor_b32 s15, s15, s11
	s_add_i32 s23, s21, 1
	s_sub_i32 s22, s20, s8
	s_cmp_ge_u32 s20, s8
	s_cselect_b32 s21, s23, s21
	s_cselect_b32 s20, s22, s20
	s_add_i32 s22, s21, 1
	s_cmp_ge_u32 s20, s8
	s_cselect_b32 s20, s22, s21
	s_xor_b32 s20, s20, s15
	s_sub_i32 s20, s20, s15
	s_ashr_i32 s21, s20, 31
	s_mul_hi_u32 s23, s16, s20
	s_mul_i32 s28, s16, s21
	s_mul_i32 s29, s17, s20
	s_add_i32 s23, s23, s28
	s_mul_i32 s15, s13, s20
	s_mul_i32 s22, s16, s20
	s_add_i32 s23, s23, s29
	s_add_i32 s15, s14, s15
	s_lshl_b64 s[22:23], s[22:23], 3
	s_waitcnt lgkmcnt(0)
	s_add_u32 s33, s0, s22
	s_addc_u32 s23, s1, s23
	s_ashr_i32 s22, s15, 31
	s_mul_hi_u32 s30, s18, s15
	s_mul_i32 s29, s18, s22
	s_mul_i32 s31, s19, s15
	s_add_i32 s29, s30, s29
	s_mul_i32 s28, s18, s15
	s_add_i32 s29, s29, s31
	s_lshl_b64 s[28:29], s[28:29], 3
	s_add_u32 s28, s33, s28
	s_addc_u32 s23, s23, s29
	v_add_co_u32_e32 v42, vcc, s28, v16
	v_mov_b32_e32 v36, s23
	v_addc_co_u32_e32 v43, vcc, v36, v17, vcc
	v_add_co_u32_e32 v36, vcc, v42, v18
	v_addc_co_u32_e32 v37, vcc, v43, v19, vcc
	v_add_co_u32_e32 v38, vcc, v42, v20
	v_addc_co_u32_e32 v39, vcc, v43, v21, vcc
	global_load_dwordx2 v[38:39], v[38:39], off
	s_nop 0
	global_load_dwordx2 v[36:37], v[36:37], off
	v_add_co_u32_e32 v44, vcc, s28, v26
	s_mul_i32 s21, s24, s21
	s_mul_i32 s29, s25, s20
	s_mul_hi_u32 s30, s26, s15
	s_mul_i32 s31, s27, s15
	s_waitcnt vmcnt(1)
	v_mul_f64 v[38:39], v[2:3], v[38:39]
	s_waitcnt vmcnt(0)
	v_fma_f64 v[36:37], v[0:1], v[36:37], v[38:39]
	v_mov_b32_e32 v38, s23
	v_addc_co_u32_e32 v46, vcc, v38, v27, vcc
	v_add_co_u32_e32 v38, vcc, v44, v18
	v_addc_co_u32_e32 v39, vcc, v46, v19, vcc
	v_add_co_u32_e32 v47, vcc, v44, v20
	v_addc_co_u32_e32 v48, vcc, v46, v21, vcc
	global_load_dwordx2 v[47:48], v[47:48], off
	s_nop 0
	global_load_dwordx2 v[38:39], v[38:39], off
	v_add_co_u32_e32 v45, vcc, s28, v28
	s_waitcnt vmcnt(1)
	v_mul_f64 v[47:48], v[2:3], v[47:48]
	s_waitcnt vmcnt(0)
	v_fma_f64 v[38:39], v[0:1], v[38:39], v[47:48]
	v_mov_b32_e32 v47, s23
	v_addc_co_u32_e32 v48, vcc, v47, v29, vcc
	v_add_co_u32_e32 v49, vcc, v45, v18
	v_addc_co_u32_e32 v50, vcc, v48, v19, vcc
	v_add_co_u32_e32 v51, vcc, v45, v20
	v_addc_co_u32_e32 v52, vcc, v48, v21, vcc
	global_load_dwordx2 v[51:52], v[51:52], off
	s_nop 0
	global_load_dwordx2 v[49:50], v[49:50], off
	v_add_co_u32_e32 v47, vcc, s28, v30
	s_mul_i32 s28, s26, s15
	s_mul_i32 s15, s26, s22
	s_waitcnt vmcnt(1)
	v_mul_f64 v[51:52], v[2:3], v[51:52]
	s_waitcnt vmcnt(0)
	v_fma_f64 v[50:51], v[0:1], v[49:50], v[51:52]
	v_mov_b32_e32 v49, s23
	v_addc_co_u32_e32 v49, vcc, v49, v31, vcc
	v_add_co_u32_e32 v52, vcc, v47, v18
	v_addc_co_u32_e32 v53, vcc, v49, v19, vcc
	v_add_co_u32_e32 v54, vcc, v47, v20
	v_addc_co_u32_e32 v55, vcc, v49, v21, vcc
	global_load_dwordx2 v[54:55], v[54:55], off
	s_nop 0
	global_load_dwordx2 v[52:53], v[52:53], off
	s_mul_hi_u32 s23, s24, s20
	s_add_i32 s21, s23, s21
	s_mul_i32 s20, s24, s20
	s_add_i32 s21, s21, s29
	s_lshl_b64 s[20:21], s[20:21], 3
	s_add_u32 s22, s2, s20
	s_addc_u32 s23, s3, s21
	s_add_i32 s15, s30, s15
	s_add_i32 s29, s15, s31
	s_lshl_b64 s[20:21], s[28:29], 3
	s_add_u32 s15, s22, s20
	s_addc_u32 s20, s23, s21
	s_add_i32 s14, s14, s9
	s_cmp_lt_i32 s14, s6
	s_waitcnt vmcnt(1)
	v_mul_f64 v[54:55], v[2:3], v[54:55]
	s_waitcnt vmcnt(0)
	v_fma_f64 v[52:53], v[0:1], v[52:53], v[54:55]
	v_add_co_u32_e32 v54, vcc, v42, v22
	v_addc_co_u32_e32 v55, vcc, v43, v23, vcc
	global_load_dwordx2 v[54:55], v[54:55], off
	s_waitcnt vmcnt(0)
	v_fma_f64 v[36:37], v[4:5], v[54:55], v[36:37]
	v_add_co_u32_e32 v54, vcc, v44, v22
	v_addc_co_u32_e32 v55, vcc, v46, v23, vcc
	global_load_dwordx2 v[54:55], v[54:55], off
	;; [unrolled: 5-line block ×3, first 2 shown]
	s_waitcnt vmcnt(0)
	v_fma_f64 v[50:51], v[4:5], v[54:55], v[50:51]
	v_add_co_u32_e32 v54, vcc, v47, v22
	v_addc_co_u32_e32 v55, vcc, v49, v23, vcc
	v_add_co_u32_e32 v42, vcc, v42, v24
	v_addc_co_u32_e32 v43, vcc, v43, v25, vcc
	global_load_dwordx2 v[54:55], v[54:55], off
	s_nop 0
	global_load_dwordx2 v[42:43], v[42:43], off
	s_waitcnt vmcnt(1)
	v_fma_f64 v[52:53], v[4:5], v[54:55], v[52:53]
	s_waitcnt vmcnt(0)
	v_fma_f64 v[36:37], v[6:7], v[42:43], v[36:37]
	v_add_co_u32_e32 v42, vcc, v44, v24
	v_addc_co_u32_e32 v43, vcc, v46, v25, vcc
	global_load_dwordx2 v[42:43], v[42:43], off
	s_waitcnt vmcnt(0)
	v_fma_f64 v[38:39], v[6:7], v[42:43], v[38:39]
	v_add_co_u32_e32 v42, vcc, v45, v24
	v_addc_co_u32_e32 v43, vcc, v48, v25, vcc
	global_load_dwordx2 v[42:43], v[42:43], off
	v_add_co_u32_e32 v44, vcc, v47, v24
	v_addc_co_u32_e32 v45, vcc, v49, v25, vcc
	global_load_dwordx2 v[44:45], v[44:45], off
	v_mul_f64 v[38:39], v[10:11], v[38:39]
	v_fma_f64 v[36:37], v[8:9], v[36:37], v[38:39]
	v_add_co_u32_e32 v38, vcc, s15, v32
	v_mov_b32_e32 v39, s20
	v_addc_co_u32_e32 v39, vcc, v39, v33, vcc
	v_add_co_u32_e32 v38, vcc, v38, v34
	v_addc_co_u32_e32 v39, vcc, v39, v35, vcc
	s_waitcnt vmcnt(1)
	v_fma_f64 v[42:43], v[6:7], v[42:43], v[50:51]
	s_waitcnt vmcnt(0)
	v_fma_f64 v[44:45], v[6:7], v[44:45], v[52:53]
	v_fma_f64 v[36:37], v[12:13], v[42:43], v[36:37]
	;; [unrolled: 1-line block ×3, first 2 shown]
	global_store_dwordx2 v[38:39], v[36:37], off
	s_cbranch_scc1 .LBB0_12
.LBB0_13:
	s_mov_b64 s[16:17], 0
.LBB0_14:
	s_and_b64 vcc, exec, s[16:17]
	s_cbranch_vccz .LBB0_18
; %bb.15:
	s_cmp_ge_i32 s7, s6
	s_cbranch_scc1 .LBB0_18
; %bb.16:
	s_load_dwordx8 s[12:19], s[4:5], 0x48
	v_ashrrev_i32_e32 v4, 31, v41
	s_load_dwordx8 s[20:27], s[4:5], 0x90
	v_ashrrev_i32_e32 v6, 31, v40
	s_waitcnt lgkmcnt(0)
	v_mul_lo_u32 v2, s17, v41
	v_mul_lo_u32 v3, s16, v4
	v_mad_u64_u32 v[0:1], s[0:1], s16, v41, 0
	s_load_dwordx2 s[0:1], s[4:5], 0x20
	s_load_dwordx2 s[2:3], s[4:5], 0x68
	v_mul_lo_u32 v11, s24, v4
	v_add3_u32 v1, v1, v3, v2
	v_mad_u64_u32 v[2:3], s[4:5], s18, v40, 0
	v_mad_u64_u32 v[4:5], s[4:5], s24, v41, 0
	s_abs_i32 s4, s10
	v_cvt_f32_u32_e32 v13, s4
	v_mul_lo_u32 v8, s19, v40
	v_mul_lo_u32 v9, s18, v6
	;; [unrolled: 1-line block ×3, first 2 shown]
	v_rcp_iflag_f32_e32 v13, v13
	v_mul_lo_u32 v12, s27, v40
	v_add3_u32 v3, v3, v9, v8
	v_mul_lo_u32 v14, s26, v6
	v_mul_f32_e32 v8, 0x4f7ffffe, v13
	v_cvt_u32_f32_e32 v8, v8
	v_mad_u64_u32 v[6:7], s[8:9], s26, v40, 0
	s_load_dword s5, s[34:35], 0x8
	s_sub_i32 s9, 0, s4
	v_readfirstlane_b32 s11, v8
	v_add3_u32 v5, v5, v11, v10
	v_add3_u32 v7, v7, v14, v12
	s_mul_i32 s9, s9, s11
	s_mul_hi_u32 s9, s11, s9
	v_lshlrev_b64 v[0:1], 3, v[0:1]
	v_lshlrev_b64 v[2:3], 3, v[2:3]
	;; [unrolled: 1-line block ×4, first 2 shown]
	s_ashr_i32 s8, s10, 31
	s_add_i32 s9, s11, s9
	s_sub_i32 s10, 0, s10
.LBB0_17:                               ; =>This Inner Loop Header: Depth=1
	s_abs_i32 s16, s7
	s_mul_hi_u32 s17, s16, s9
	s_mul_i32 s18, s17, s4
	s_ashr_i32 s11, s7, 31
	s_sub_i32 s16, s16, s18
	s_xor_b32 s11, s11, s8
	s_add_i32 s19, s17, 1
	s_sub_i32 s18, s16, s4
	s_cmp_ge_u32 s16, s4
	s_cselect_b32 s17, s19, s17
	s_cselect_b32 s16, s18, s16
	s_add_i32 s18, s17, 1
	s_cmp_ge_u32 s16, s4
	s_cselect_b32 s16, s18, s17
	s_xor_b32 s16, s16, s11
	s_sub_i32 s11, s16, s11
	s_mul_i32 s17, s10, s11
	s_ashr_i32 s24, s11, 31
	s_mul_hi_u32 s18, s12, s11
	s_add_i32 s25, s7, s17
	s_mul_i32 s17, s12, s24
	s_mul_i32 s19, s13, s11
	s_add_i32 s17, s18, s17
	s_mul_i32 s16, s12, s11
	s_add_i32 s17, s17, s19
	s_lshl_b64 s[16:17], s[16:17], 3
	s_waitcnt lgkmcnt(0)
	s_add_u32 s28, s0, s16
	s_addc_u32 s29, s1, s17
	s_ashr_i32 s30, s25, 31
	s_mul_hi_u32 s26, s14, s25
	s_mul_i32 s16, s14, s30
	s_mul_i32 s27, s15, s25
	s_add_i32 s16, s26, s16
	s_mul_i32 s18, s14, s25
	s_add_i32 s19, s16, s27
	s_lshl_b64 s[16:17], s[18:19], 3
	s_add_u32 s16, s28, s16
	s_addc_u32 s17, s29, s17
	v_mov_b32_e32 v8, s17
	v_add_co_u32_e32 v9, vcc, s16, v0
	v_addc_co_u32_e32 v10, vcc, v8, v1, vcc
	v_add_co_u32_e32 v8, vcc, v9, v2
	v_addc_co_u32_e32 v9, vcc, v10, v3, vcc
	global_load_dwordx2 v[8:9], v[8:9], off
	s_mul_hi_u32 s17, s20, s11
	s_mul_i32 s19, s21, s11
	s_mul_i32 s16, s20, s11
	;; [unrolled: 1-line block ×3, first 2 shown]
	s_add_i32 s11, s17, s11
	s_add_i32 s17, s11, s19
	s_lshl_b64 s[16:17], s[16:17], 3
	s_mul_hi_u32 s24, s22, s25
	s_mul_i32 s26, s23, s25
	s_mul_i32 s18, s22, s25
	;; [unrolled: 1-line block ×3, first 2 shown]
	s_add_u32 s11, s2, s16
	s_addc_u32 s27, s3, s17
	s_add_i32 s16, s24, s25
	s_add_i32 s19, s16, s26
	s_lshl_b64 s[16:17], s[18:19], 3
	s_add_u32 s11, s11, s16
	s_addc_u32 s16, s27, s17
	v_mov_b32_e32 v10, s16
	v_add_co_u32_e32 v11, vcc, s11, v4
	v_addc_co_u32_e32 v12, vcc, v10, v5, vcc
	s_add_i32 s7, s7, s5
	v_add_co_u32_e32 v10, vcc, v11, v6
	s_cmp_ge_i32 s7, s6
	v_addc_co_u32_e32 v11, vcc, v12, v7, vcc
	s_waitcnt vmcnt(0)
	global_store_dwordx2 v[10:11], v[8:9], off
	s_cbranch_scc0 .LBB0_17
.LBB0_18:
	s_endpgm
	.section	.rodata,"a",@progbits
	.p2align	6, 0x0
	.amdhsa_kernel _ZN2at6native12_GLOBAL__N_137upsample_bicubic2d_out_frame_parallelIddEEviT0_S3_bN5torch10headeronly6detail27GenericPackedTensorAccessorINS6_14TensorAccessorIN3c108ArrayRefIlEEKT_Lm3ENS5_16DefaultPtrTraitsElEENS_6detail16IndexBoundsCheckILm4ElEESD_Lm4ESE_lEENS7_INS8_ISB_SC_Lm3ESE_lEESI_SC_Lm4ESE_lEE
		.amdhsa_group_segment_fixed_size 0
		.amdhsa_private_segment_fixed_size 0
		.amdhsa_kernarg_size 432
		.amdhsa_user_sgpr_count 6
		.amdhsa_user_sgpr_private_segment_buffer 1
		.amdhsa_user_sgpr_dispatch_ptr 0
		.amdhsa_user_sgpr_queue_ptr 0
		.amdhsa_user_sgpr_kernarg_segment_ptr 1
		.amdhsa_user_sgpr_dispatch_id 0
		.amdhsa_user_sgpr_flat_scratch_init 0
		.amdhsa_user_sgpr_private_segment_size 0
		.amdhsa_uses_dynamic_stack 0
		.amdhsa_system_sgpr_private_segment_wavefront_offset 0
		.amdhsa_system_sgpr_workgroup_id_x 1
		.amdhsa_system_sgpr_workgroup_id_y 0
		.amdhsa_system_sgpr_workgroup_id_z 1
		.amdhsa_system_sgpr_workgroup_info 0
		.amdhsa_system_vgpr_workitem_id 0
		.amdhsa_next_free_vgpr 56
		.amdhsa_next_free_sgpr 36
		.amdhsa_reserve_vcc 1
		.amdhsa_reserve_flat_scratch 0
		.amdhsa_float_round_mode_32 0
		.amdhsa_float_round_mode_16_64 0
		.amdhsa_float_denorm_mode_32 3
		.amdhsa_float_denorm_mode_16_64 3
		.amdhsa_dx10_clamp 1
		.amdhsa_ieee_mode 1
		.amdhsa_fp16_overflow 0
		.amdhsa_exception_fp_ieee_invalid_op 0
		.amdhsa_exception_fp_denorm_src 0
		.amdhsa_exception_fp_ieee_div_zero 0
		.amdhsa_exception_fp_ieee_overflow 0
		.amdhsa_exception_fp_ieee_underflow 0
		.amdhsa_exception_fp_ieee_inexact 0
		.amdhsa_exception_int_div_zero 0
	.end_amdhsa_kernel
	.section	.text._ZN2at6native12_GLOBAL__N_137upsample_bicubic2d_out_frame_parallelIddEEviT0_S3_bN5torch10headeronly6detail27GenericPackedTensorAccessorINS6_14TensorAccessorIN3c108ArrayRefIlEEKT_Lm3ENS5_16DefaultPtrTraitsElEENS_6detail16IndexBoundsCheckILm4ElEESD_Lm4ESE_lEENS7_INS8_ISB_SC_Lm3ESE_lEESI_SC_Lm4ESE_lEE,"axG",@progbits,_ZN2at6native12_GLOBAL__N_137upsample_bicubic2d_out_frame_parallelIddEEviT0_S3_bN5torch10headeronly6detail27GenericPackedTensorAccessorINS6_14TensorAccessorIN3c108ArrayRefIlEEKT_Lm3ENS5_16DefaultPtrTraitsElEENS_6detail16IndexBoundsCheckILm4ElEESD_Lm4ESE_lEENS7_INS8_ISB_SC_Lm3ESE_lEESI_SC_Lm4ESE_lEE,comdat
.Lfunc_end0:
	.size	_ZN2at6native12_GLOBAL__N_137upsample_bicubic2d_out_frame_parallelIddEEviT0_S3_bN5torch10headeronly6detail27GenericPackedTensorAccessorINS6_14TensorAccessorIN3c108ArrayRefIlEEKT_Lm3ENS5_16DefaultPtrTraitsElEENS_6detail16IndexBoundsCheckILm4ElEESD_Lm4ESE_lEENS7_INS8_ISB_SC_Lm3ESE_lEESI_SC_Lm4ESE_lEE, .Lfunc_end0-_ZN2at6native12_GLOBAL__N_137upsample_bicubic2d_out_frame_parallelIddEEviT0_S3_bN5torch10headeronly6detail27GenericPackedTensorAccessorINS6_14TensorAccessorIN3c108ArrayRefIlEEKT_Lm3ENS5_16DefaultPtrTraitsElEENS_6detail16IndexBoundsCheckILm4ElEESD_Lm4ESE_lEENS7_INS8_ISB_SC_Lm3ESE_lEESI_SC_Lm4ESE_lEE
                                        ; -- End function
	.set _ZN2at6native12_GLOBAL__N_137upsample_bicubic2d_out_frame_parallelIddEEviT0_S3_bN5torch10headeronly6detail27GenericPackedTensorAccessorINS6_14TensorAccessorIN3c108ArrayRefIlEEKT_Lm3ENS5_16DefaultPtrTraitsElEENS_6detail16IndexBoundsCheckILm4ElEESD_Lm4ESE_lEENS7_INS8_ISB_SC_Lm3ESE_lEESI_SC_Lm4ESE_lEE.num_vgpr, 56
	.set _ZN2at6native12_GLOBAL__N_137upsample_bicubic2d_out_frame_parallelIddEEviT0_S3_bN5torch10headeronly6detail27GenericPackedTensorAccessorINS6_14TensorAccessorIN3c108ArrayRefIlEEKT_Lm3ENS5_16DefaultPtrTraitsElEENS_6detail16IndexBoundsCheckILm4ElEESD_Lm4ESE_lEENS7_INS8_ISB_SC_Lm3ESE_lEESI_SC_Lm4ESE_lEE.num_agpr, 0
	.set _ZN2at6native12_GLOBAL__N_137upsample_bicubic2d_out_frame_parallelIddEEviT0_S3_bN5torch10headeronly6detail27GenericPackedTensorAccessorINS6_14TensorAccessorIN3c108ArrayRefIlEEKT_Lm3ENS5_16DefaultPtrTraitsElEENS_6detail16IndexBoundsCheckILm4ElEESD_Lm4ESE_lEENS7_INS8_ISB_SC_Lm3ESE_lEESI_SC_Lm4ESE_lEE.numbered_sgpr, 36
	.set _ZN2at6native12_GLOBAL__N_137upsample_bicubic2d_out_frame_parallelIddEEviT0_S3_bN5torch10headeronly6detail27GenericPackedTensorAccessorINS6_14TensorAccessorIN3c108ArrayRefIlEEKT_Lm3ENS5_16DefaultPtrTraitsElEENS_6detail16IndexBoundsCheckILm4ElEESD_Lm4ESE_lEENS7_INS8_ISB_SC_Lm3ESE_lEESI_SC_Lm4ESE_lEE.num_named_barrier, 0
	.set _ZN2at6native12_GLOBAL__N_137upsample_bicubic2d_out_frame_parallelIddEEviT0_S3_bN5torch10headeronly6detail27GenericPackedTensorAccessorINS6_14TensorAccessorIN3c108ArrayRefIlEEKT_Lm3ENS5_16DefaultPtrTraitsElEENS_6detail16IndexBoundsCheckILm4ElEESD_Lm4ESE_lEENS7_INS8_ISB_SC_Lm3ESE_lEESI_SC_Lm4ESE_lEE.private_seg_size, 0
	.set _ZN2at6native12_GLOBAL__N_137upsample_bicubic2d_out_frame_parallelIddEEviT0_S3_bN5torch10headeronly6detail27GenericPackedTensorAccessorINS6_14TensorAccessorIN3c108ArrayRefIlEEKT_Lm3ENS5_16DefaultPtrTraitsElEENS_6detail16IndexBoundsCheckILm4ElEESD_Lm4ESE_lEENS7_INS8_ISB_SC_Lm3ESE_lEESI_SC_Lm4ESE_lEE.uses_vcc, 1
	.set _ZN2at6native12_GLOBAL__N_137upsample_bicubic2d_out_frame_parallelIddEEviT0_S3_bN5torch10headeronly6detail27GenericPackedTensorAccessorINS6_14TensorAccessorIN3c108ArrayRefIlEEKT_Lm3ENS5_16DefaultPtrTraitsElEENS_6detail16IndexBoundsCheckILm4ElEESD_Lm4ESE_lEENS7_INS8_ISB_SC_Lm3ESE_lEESI_SC_Lm4ESE_lEE.uses_flat_scratch, 0
	.set _ZN2at6native12_GLOBAL__N_137upsample_bicubic2d_out_frame_parallelIddEEviT0_S3_bN5torch10headeronly6detail27GenericPackedTensorAccessorINS6_14TensorAccessorIN3c108ArrayRefIlEEKT_Lm3ENS5_16DefaultPtrTraitsElEENS_6detail16IndexBoundsCheckILm4ElEESD_Lm4ESE_lEENS7_INS8_ISB_SC_Lm3ESE_lEESI_SC_Lm4ESE_lEE.has_dyn_sized_stack, 0
	.set _ZN2at6native12_GLOBAL__N_137upsample_bicubic2d_out_frame_parallelIddEEviT0_S3_bN5torch10headeronly6detail27GenericPackedTensorAccessorINS6_14TensorAccessorIN3c108ArrayRefIlEEKT_Lm3ENS5_16DefaultPtrTraitsElEENS_6detail16IndexBoundsCheckILm4ElEESD_Lm4ESE_lEENS7_INS8_ISB_SC_Lm3ESE_lEESI_SC_Lm4ESE_lEE.has_recursion, 0
	.set _ZN2at6native12_GLOBAL__N_137upsample_bicubic2d_out_frame_parallelIddEEviT0_S3_bN5torch10headeronly6detail27GenericPackedTensorAccessorINS6_14TensorAccessorIN3c108ArrayRefIlEEKT_Lm3ENS5_16DefaultPtrTraitsElEENS_6detail16IndexBoundsCheckILm4ElEESD_Lm4ESE_lEENS7_INS8_ISB_SC_Lm3ESE_lEESI_SC_Lm4ESE_lEE.has_indirect_call, 0
	.section	.AMDGPU.csdata,"",@progbits
; Kernel info:
; codeLenInByte = 2696
; TotalNumSgprs: 40
; NumVgprs: 56
; ScratchSize: 0
; MemoryBound: 0
; FloatMode: 240
; IeeeMode: 1
; LDSByteSize: 0 bytes/workgroup (compile time only)
; SGPRBlocks: 4
; VGPRBlocks: 13
; NumSGPRsForWavesPerEU: 40
; NumVGPRsForWavesPerEU: 56
; Occupancy: 4
; WaveLimiterHint : 1
; COMPUTE_PGM_RSRC2:SCRATCH_EN: 0
; COMPUTE_PGM_RSRC2:USER_SGPR: 6
; COMPUTE_PGM_RSRC2:TRAP_HANDLER: 0
; COMPUTE_PGM_RSRC2:TGID_X_EN: 1
; COMPUTE_PGM_RSRC2:TGID_Y_EN: 0
; COMPUTE_PGM_RSRC2:TGID_Z_EN: 1
; COMPUTE_PGM_RSRC2:TIDIG_COMP_CNT: 0
	.section	.text._ZN2at6native12_GLOBAL__N_128upsample_bicubic2d_out_frameIddEEviT0_S3_bN5torch10headeronly6detail27GenericPackedTensorAccessorINS6_14TensorAccessorIN3c108ArrayRefIlEEKT_Lm3ENS5_16DefaultPtrTraitsElEENS_6detail16IndexBoundsCheckILm4ElEESD_Lm4ESE_lEENS7_INS8_ISB_SC_Lm3ESE_lEESI_SC_Lm4ESE_lEE,"axG",@progbits,_ZN2at6native12_GLOBAL__N_128upsample_bicubic2d_out_frameIddEEviT0_S3_bN5torch10headeronly6detail27GenericPackedTensorAccessorINS6_14TensorAccessorIN3c108ArrayRefIlEEKT_Lm3ENS5_16DefaultPtrTraitsElEENS_6detail16IndexBoundsCheckILm4ElEESD_Lm4ESE_lEENS7_INS8_ISB_SC_Lm3ESE_lEESI_SC_Lm4ESE_lEE,comdat
	.globl	_ZN2at6native12_GLOBAL__N_128upsample_bicubic2d_out_frameIddEEviT0_S3_bN5torch10headeronly6detail27GenericPackedTensorAccessorINS6_14TensorAccessorIN3c108ArrayRefIlEEKT_Lm3ENS5_16DefaultPtrTraitsElEENS_6detail16IndexBoundsCheckILm4ElEESD_Lm4ESE_lEENS7_INS8_ISB_SC_Lm3ESE_lEESI_SC_Lm4ESE_lEE ; -- Begin function _ZN2at6native12_GLOBAL__N_128upsample_bicubic2d_out_frameIddEEviT0_S3_bN5torch10headeronly6detail27GenericPackedTensorAccessorINS6_14TensorAccessorIN3c108ArrayRefIlEEKT_Lm3ENS5_16DefaultPtrTraitsElEENS_6detail16IndexBoundsCheckILm4ElEESD_Lm4ESE_lEENS7_INS8_ISB_SC_Lm3ESE_lEESI_SC_Lm4ESE_lEE
	.p2align	8
	.type	_ZN2at6native12_GLOBAL__N_128upsample_bicubic2d_out_frameIddEEviT0_S3_bN5torch10headeronly6detail27GenericPackedTensorAccessorINS6_14TensorAccessorIN3c108ArrayRefIlEEKT_Lm3ENS5_16DefaultPtrTraitsElEENS_6detail16IndexBoundsCheckILm4ElEESD_Lm4ESE_lEENS7_INS8_ISB_SC_Lm3ESE_lEESI_SC_Lm4ESE_lEE,@function
_ZN2at6native12_GLOBAL__N_128upsample_bicubic2d_out_frameIddEEviT0_S3_bN5torch10headeronly6detail27GenericPackedTensorAccessorINS6_14TensorAccessorIN3c108ArrayRefIlEEKT_Lm3ENS5_16DefaultPtrTraitsElEENS_6detail16IndexBoundsCheckILm4ElEESD_Lm4ESE_lEENS7_INS8_ISB_SC_Lm3ESE_lEESI_SC_Lm4ESE_lEE: ; @_ZN2at6native12_GLOBAL__N_128upsample_bicubic2d_out_frameIddEEviT0_S3_bN5torch10headeronly6detail27GenericPackedTensorAccessorINS6_14TensorAccessorIN3c108ArrayRefIlEEKT_Lm3ENS5_16DefaultPtrTraitsElEENS_6detail16IndexBoundsCheckILm4ElEESD_Lm4ESE_lEENS7_INS8_ISB_SC_Lm3ESE_lEESI_SC_Lm4ESE_lEE
; %bb.0:
	s_mov_b64 s[38:39], s[2:3]
	s_mov_b64 s[36:37], s[0:1]
	s_load_dword s0, s[4:5], 0xbc
	s_load_dword s1, s[4:5], 0x0
	s_add_u32 s36, s36, s7
	s_addc_u32 s37, s37, 0
	s_waitcnt lgkmcnt(0)
	s_and_b32 s0, s0, 0xffff
	s_mul_i32 s6, s6, s0
	v_add_u32_e32 v0, s6, v0
	v_cmp_gt_i32_e32 vcc, s1, v0
	s_and_saveexec_b64 s[0:1], vcc
	s_cbranch_execz .LBB1_22
; %bb.1:
	s_load_dwordx4 s[0:3], s[4:5], 0x80
	v_sub_u32_e32 v3, 0, v0
	v_max_i32_e32 v3, v0, v3
	s_load_dwordx8 s[8:15], s[4:5], 0x28
	s_mov_b64 s[6:7], -1
	s_waitcnt lgkmcnt(0)
	s_abs_i32 s3, s2
	v_cvt_f32_u32_e32 v1, s3
	s_sub_i32 s1, 0, s3
	s_cmp_lg_u32 s12, s0
	v_rcp_iflag_f32_e32 v1, v1
	v_mul_f32_e32 v1, 0x4f7ffffe, v1
	v_cvt_u32_f32_e32 v1, v1
	v_mul_lo_u32 v2, s1, v1
	s_cselect_b64 s[0:1], -1, 0
	s_cmp_lg_u32 s14, s2
	v_mul_hi_u32 v2, v1, v2
	v_add_u32_e32 v1, v1, v2
	v_mul_hi_u32 v1, v3, v1
	v_xor_b32_e32 v2, s2, v0
	v_ashrrev_i32_e32 v2, 31, v2
	v_mul_lo_u32 v4, v1, s3
	v_add_u32_e32 v5, 1, v1
	v_sub_u32_e32 v3, v3, v4
	v_cmp_le_u32_e32 vcc, s3, v3
	v_subrev_u32_e32 v4, s3, v3
	v_cndmask_b32_e32 v1, v1, v5, vcc
	v_cndmask_b32_e32 v3, v3, v4, vcc
	v_add_u32_e32 v4, 1, v1
	v_cmp_le_u32_e32 vcc, s3, v3
	v_cndmask_b32_e32 v1, v1, v4, vcc
	v_xor_b32_e32 v1, v1, v2
	v_sub_u32_e32 v10, v1, v2
	v_mul_lo_u32 v1, v10, s2
	s_cselect_b64 s[2:3], -1, 0
	s_or_b64 s[0:1], s[2:3], s[0:1]
	s_and_b64 vcc, exec, s[0:1]
	v_sub_u32_e32 v63, v0, v1
	s_cbranch_vccz .LBB1_16
; %bb.2:
	s_load_dword s6, s[4:5], 0x18
	s_load_dwordx4 s[0:3], s[4:5], 0x8
	v_cvt_f64_i32_e32 v[0:1], v63
	s_mov_b64 s[16:17], -1
                                        ; implicit-def: $vgpr2_vgpr3
	s_waitcnt lgkmcnt(0)
	s_bitcmp1_b32 s6, 0
	s_cselect_b64 s[6:7], -1, 0
	s_xor_b64 s[6:7], s[6:7], -1
	s_and_b64 vcc, exec, s[6:7]
	s_cbranch_vccnz .LBB1_6
; %bb.3:
	s_andn2_b64 vcc, exec, s[16:17]
	s_cbranch_vccz .LBB1_7
.LBB1_4:
	v_cvt_f64_i32_e32 v[0:1], v10
	s_and_b64 vcc, exec, s[6:7]
	s_cbranch_vccz .LBB1_8
.LBB1_5:
	v_add_f64 v[4:5], v[0:1], 0.5
	v_fma_f64 v[4:5], s[0:1], v[4:5], -0.5
	buffer_store_dword v10, off, s[36:39], 0 ; 4-byte Folded Spill
	s_cbranch_execz .LBB1_9
	s_branch .LBB1_10
.LBB1_6:
	v_add_f64 v[2:3], v[0:1], 0.5
	v_fma_f64 v[2:3], s[2:3], v[2:3], -0.5
	s_cbranch_execnz .LBB1_4
.LBB1_7:
	v_mul_f64 v[2:3], s[2:3], v[0:1]
	v_cvt_f64_i32_e32 v[0:1], v10
	s_and_b64 vcc, exec, s[6:7]
	s_cbranch_vccnz .LBB1_5
.LBB1_8:
                                        ; implicit-def: $vgpr4_vgpr5
	buffer_store_dword v10, off, s[36:39], 0 ; 4-byte Folded Spill
.LBB1_9:
	v_mul_f64 v[4:5], s[0:1], v[0:1]
.LBB1_10:
	s_cmp_lt_i32 s8, 1
	s_cbranch_scc1 .LBB1_15
; %bb.11:
	v_cvt_f32_f64_e32 v1, v[4:5]
	v_cvt_f32_f64_e32 v0, v[2:3]
	s_load_dwordx8 s[16:23], s[4:5], 0x90
	s_cmp_gt_i32 s10, 0
	v_floor_f32_e32 v1, v1
	v_cvt_i32_f32_e32 v6, v1
	buffer_load_dword v1, off, s[36:39], 0  ; 4-byte Folded Reload
	v_floor_f32_e32 v0, v0
	v_cvt_i32_f32_e32 v7, v0
	s_cselect_b64 s[0:1], -1, 0
	s_add_i32 s11, s14, -1
	s_waitcnt lgkmcnt(0)
	v_mul_lo_u32 v12, s23, v63
	v_add_u32_e32 v0, -1, v7
	v_min_i32_e32 v8, s11, v0
	v_max_i32_e32 v14, 0, v8
	v_ashrrev_i32_e32 v8, 31, v63
	v_mul_lo_u32 v13, s22, v8
	s_load_dwordx8 s[24:31], s[4:5], 0x48
	v_add_u32_e32 v10, -1, v6
	s_add_i32 s9, s12, -1
	s_mov_b32 s12, 0
	s_mov_b32 s13, 0x3ff40000
	;; [unrolled: 1-line block ×4, first 2 shown]
	s_waitcnt vmcnt(0)
	v_ashrrev_i32_e32 v0, 31, v1
	v_mul_lo_u32 v9, s21, v1
	v_mul_lo_u32 v11, s20, v0
	v_mad_u64_u32 v[0:1], s[2:3], s20, v1, 0
	s_load_dwordx2 s[2:3], s[4:5], 0x68
	v_add3_u32 v1, v1, v11, v9
	v_mad_u64_u32 v[8:9], s[6:7], s22, v63, 0
	v_lshlrev_b64 v[0:1], 3, v[0:1]
	s_waitcnt lgkmcnt(0)
	v_mov_b32_e32 v11, s3
	v_add_co_u32_e32 v15, vcc, s2, v0
	v_add3_u32 v9, v9, v13, v12
	v_addc_co_u32_e32 v11, vcc, v11, v1, vcc
	v_lshlrev_b64 v[0:1], 3, v[8:9]
	v_min_i32_e32 v8, s9, v10
	v_max_i32_e32 v12, 0, v8
	v_add_co_u32_e32 v0, vcc, v15, v0
	v_mad_u64_u32 v[8:9], s[2:3], s28, v12, 0
	v_addc_co_u32_e32 v1, vcc, v11, v1, vcc
	v_mad_u64_u32 v[10:11], s[2:3], s30, v14, 0
	s_mov_b32 s6, 0
	s_mov_b32 s7, 0xc0180000
	v_mad_u64_u32 v[12:13], s[2:3], s29, v12, v[9:10]
	v_min_i32_e32 v9, s11, v7
	v_max_i32_e32 v18, 0, v9
	v_mov_b32_e32 v9, v11
	v_mad_u64_u32 v[13:14], s[2:3], s31, v14, v[9:10]
	v_add_u32_e32 v9, 1, v7
	v_mad_u64_u32 v[14:15], s[2:3], s30, v18, 0
	v_min_i32_e32 v9, s11, v9
	v_max_i32_e32 v11, 0, v9
	v_mad_u64_u32 v[16:17], s[2:3], s30, v11, 0
	v_mov_b32_e32 v9, v15
	v_mad_u64_u32 v[18:19], s[2:3], s31, v18, v[9:10]
	v_mov_b32_e32 v9, v17
	;; [unrolled: 2-line block ×3, first 2 shown]
	v_add_u32_e32 v12, 2, v7
	v_mov_b32_e32 v15, v18
	v_min_i32_e32 v12, s11, v12
	v_min_i32_e32 v18, s9, v6
	v_max_i32_e32 v20, 0, v12
	v_max_i32_e32 v22, 0, v18
	v_mov_b32_e32 v11, v13
	v_mov_b32_e32 v17, v19
	v_mad_u64_u32 v[12:13], s[2:3], s30, v20, 0
	v_mad_u64_u32 v[18:19], s[2:3], s28, v22, 0
	;; [unrolled: 1-line block ×3, first 2 shown]
	v_mov_b32_e32 v13, v19
	v_mad_u64_u32 v[21:22], s[2:3], s29, v22, v[13:14]
	v_add_u32_e32 v13, 1, v6
	v_min_i32_e32 v13, s9, v13
	v_max_i32_e32 v19, 0, v13
	v_add_u32_e32 v13, 2, v6
	v_min_i32_e32 v13, s9, v13
	v_mad_u64_u32 v[22:23], s[2:3], s28, v19, 0
	v_max_i32_e32 v28, 0, v13
	v_mad_u64_u32 v[24:25], s[2:3], s28, v28, 0
	v_mov_b32_e32 v13, v23
	v_mad_u64_u32 v[26:27], s[2:3], s29, v19, v[13:14]
	v_mov_b32_e32 v13, v25
	v_mad_u64_u32 v[30:31], s[2:3], s29, v28, v[13:14]
	v_lshlrev_b64 v[8:9], 3, v[8:9]
	v_lshlrev_b64 v[10:11], 3, v[10:11]
	v_mov_b32_e32 v25, v30
	v_lshlrev_b64 v[14:15], 3, v[14:15]
	v_add_co_u32_e32 v30, vcc, v8, v10
	v_addc_co_u32_e32 v31, vcc, v9, v11, vcc
	v_lshlrev_b64 v[16:17], 3, v[16:17]
	v_add_co_u32_e32 v32, vcc, v14, v8
	v_mov_b32_e32 v13, v20
	v_addc_co_u32_e32 v33, vcc, v15, v9, vcc
	v_mov_b32_e32 v19, v21
	v_lshlrev_b64 v[20:21], 3, v[12:13]
	v_add_co_u32_e32 v34, vcc, v8, v16
	v_addc_co_u32_e32 v35, vcc, v9, v17, vcc
	v_add_co_u32_e32 v36, vcc, v8, v20
	v_addc_co_u32_e32 v37, vcc, v9, v21, vcc
	v_lshlrev_b64 v[8:9], 3, v[18:19]
	v_cvt_f64_i32_e32 v[12:13], v7
	v_add_co_u32_e32 v38, vcc, v8, v10
	v_addc_co_u32_e32 v39, vcc, v9, v11, vcc
	v_add_co_u32_e32 v40, vcc, v8, v14
	v_addc_co_u32_e32 v41, vcc, v9, v15, vcc
	v_add_co_u32_e32 v42, vcc, v8, v16
	v_add_f64 v[12:13], v[2:3], -v[12:13]
	v_addc_co_u32_e32 v43, vcc, v9, v17, vcc
	v_mov_b32_e32 v23, v26
	v_add_co_u32_e32 v44, vcc, v8, v20
	v_addc_co_u32_e32 v45, vcc, v9, v21, vcc
	v_lshlrev_b64 v[8:9], 3, v[22:23]
	v_add_f64 v[2:3], v[12:13], 1.0
	v_add_co_u32_e32 v46, vcc, v10, v8
	v_addc_co_u32_e32 v47, vcc, v11, v9, vcc
	v_add_co_u32_e32 v48, vcc, v14, v8
	v_addc_co_u32_e32 v49, vcc, v15, v9, vcc
	v_add_co_u32_e32 v50, vcc, v8, v16
	v_addc_co_u32_e32 v51, vcc, v9, v17, vcc
	v_add_co_u32_e32 v52, vcc, v20, v8
	v_lshlrev_b64 v[18:19], 3, v[24:25]
	v_addc_co_u32_e32 v53, vcc, v21, v9, vcc
	v_cvt_f64_i32_e32 v[6:7], v6
	v_add_co_u32_e32 v54, vcc, v10, v18
	v_addc_co_u32_e32 v55, vcc, v11, v19, vcc
	v_mov_b32_e32 v22, 0
	s_mov_b32 s2, 0
	v_mov_b32_e32 v23, 0x400e0000
	s_mov_b32 s3, 0xbfe80000
	v_add_co_u32_e32 v56, vcc, v14, v18
	v_fma_f64 v[8:9], v[2:3], s[2:3], v[22:23]
	v_addc_co_u32_e32 v57, vcc, v15, v19, vcc
	v_add_f64 v[14:15], v[4:5], -v[6:7]
	v_add_f64 v[6:7], -v[12:13], 1.0
	v_mov_b32_e32 v24, 0
	v_mov_b32_e32 v25, 0xc0020000
	v_add_co_u32_e32 v58, vcc, v18, v16
	v_fma_f64 v[4:5], v[2:3], v[8:9], s[6:7]
	v_fma_f64 v[8:9], v[12:13], s[12:13], v[24:25]
	v_addc_co_u32_e32 v59, vcc, v19, v17, vcc
	v_fma_f64 v[10:11], v[6:7], s[12:13], v[24:25]
	v_add_f64 v[26:27], v[6:7], 1.0
	v_add_f64 v[16:17], v[14:15], 1.0
	v_add_f64 v[60:61], -v[14:15], 1.0
	v_fma_f64 v[2:3], v[2:3], v[4:5], s[14:15]
	v_mul_f64 v[4:5], v[12:13], v[8:9]
	s_mov_b32 s9, 0
	v_mul_f64 v[8:9], v[6:7], v[10:11]
	v_fma_f64 v[10:11], v[26:27], s[2:3], v[22:23]
	v_fma_f64 v[4:5], v[12:13], v[4:5], 1.0
	v_fma_f64 v[12:13], v[16:17], s[2:3], v[22:23]
	v_fma_f64 v[6:7], v[6:7], v[8:9], 1.0
	v_fma_f64 v[8:9], v[26:27], v[10:11], s[6:7]
	v_fma_f64 v[10:11], v[16:17], v[12:13], s[6:7]
	;; [unrolled: 1-line block ×4, first 2 shown]
	v_add_f64 v[26:27], v[60:61], 1.0
	v_fma_f64 v[10:11], v[16:17], v[10:11], s[14:15]
	v_fma_f64 v[16:17], v[60:61], s[12:13], v[24:25]
	v_mul_f64 v[12:13], v[14:15], v[12:13]
	s_lshl_b64 s[12:13], s[18:19], 3
	v_fma_f64 v[22:23], v[26:27], s[2:3], v[22:23]
	s_load_dwordx2 s[2:3], s[4:5], 0x20
	v_mul_f64 v[16:17], v[60:61], v[16:17]
	v_fma_f64 v[12:13], v[14:15], v[12:13], 1.0
	v_fma_f64 v[22:23], v[26:27], v[22:23], s[6:7]
	s_lshl_b64 s[6:7], s[16:17], 3
	s_lshl_b64 s[16:17], s[26:27], 3
	v_fma_f64 v[14:15], v[60:61], v[16:17], 1.0
	v_add_co_u32_e32 v60, vcc, v18, v20
	v_fma_f64 v[16:17], v[26:27], v[22:23], s[14:15]
	v_addc_co_u32_e32 v61, vcc, v19, v21, vcc
	s_lshl_b64 s[14:15], s[24:25], 3
	s_branch .LBB1_13
.LBB1_12:                               ;   in Loop: Header=BB1_13 Depth=1
	s_add_i32 s9, s9, 1
	s_add_u32 s2, s2, s14
	v_mov_b32_e32 v18, s7
	s_addc_u32 s3, s3, s15
	v_add_co_u32_e32 v0, vcc, s6, v0
	s_cmp_eq_u32 s9, s8
	v_addc_co_u32_e32 v1, vcc, v1, v18, vcc
	s_cbranch_scc1 .LBB1_15
.LBB1_13:                               ; =>This Loop Header: Depth=1
                                        ;     Child Loop BB1_14 Depth 2
	v_mov_b32_e32 v19, v1
	s_andn2_b64 vcc, exec, s[0:1]
	s_waitcnt lgkmcnt(0)
	s_mov_b64 s[18:19], s[2:3]
	v_mov_b32_e32 v18, v0
	s_mov_b32 s11, s10
	s_cbranch_vccnz .LBB1_12
.LBB1_14:                               ;   Parent Loop BB1_13 Depth=1
                                        ; =>  This Inner Loop Header: Depth=2
	v_add_co_u32_e32 v20, vcc, s18, v30
	v_mov_b32_e32 v62, s19
	v_addc_co_u32_e32 v21, vcc, v62, v31, vcc
	v_add_co_u32_e32 v22, vcc, s18, v32
	v_addc_co_u32_e32 v23, vcc, v62, v33, vcc
	global_load_dwordx2 v[22:23], v[22:23], off
	s_nop 0
	global_load_dwordx2 v[20:21], v[20:21], off
	s_add_i32 s11, s11, -1
	s_waitcnt vmcnt(1)
	v_mul_f64 v[22:23], v[4:5], v[22:23]
	s_waitcnt vmcnt(0)
	v_fma_f64 v[20:21], v[2:3], v[20:21], v[22:23]
	v_add_co_u32_e32 v22, vcc, s18, v38
	v_addc_co_u32_e32 v23, vcc, v62, v39, vcc
	v_add_co_u32_e32 v24, vcc, s18, v40
	v_addc_co_u32_e32 v25, vcc, v62, v41, vcc
	global_load_dwordx2 v[24:25], v[24:25], off
	s_nop 0
	global_load_dwordx2 v[22:23], v[22:23], off
	s_waitcnt vmcnt(1)
	v_mul_f64 v[24:25], v[4:5], v[24:25]
	s_waitcnt vmcnt(0)
	v_fma_f64 v[22:23], v[2:3], v[22:23], v[24:25]
	v_add_co_u32_e32 v24, vcc, s18, v46
	v_addc_co_u32_e32 v25, vcc, v62, v47, vcc
	v_add_co_u32_e32 v26, vcc, s18, v48
	v_addc_co_u32_e32 v27, vcc, v62, v49, vcc
	global_load_dwordx2 v[26:27], v[26:27], off
	s_nop 0
	global_load_dwordx2 v[24:25], v[24:25], off
	;; [unrolled: 11-line block ×3, first 2 shown]
	s_waitcnt vmcnt(1)
	v_mul_f64 v[28:29], v[4:5], v[28:29]
	s_waitcnt vmcnt(0)
	v_fma_f64 v[26:27], v[2:3], v[26:27], v[28:29]
	v_add_co_u32_e32 v28, vcc, s18, v34
	v_addc_co_u32_e32 v29, vcc, v62, v35, vcc
	global_load_dwordx2 v[28:29], v[28:29], off
	s_waitcnt vmcnt(0)
	v_fma_f64 v[20:21], v[6:7], v[28:29], v[20:21]
	v_add_co_u32_e32 v28, vcc, s18, v42
	v_addc_co_u32_e32 v29, vcc, v62, v43, vcc
	global_load_dwordx2 v[28:29], v[28:29], off
	;; [unrolled: 5-line block ×7, first 2 shown]
	v_mul_f64 v[22:23], v[12:13], v[22:23]
	v_fma_f64 v[20:21], v[10:11], v[20:21], v[22:23]
	v_add_co_u32_e32 v22, vcc, s18, v60
	v_addc_co_u32_e32 v23, vcc, v62, v61, vcc
	global_load_dwordx2 v[22:23], v[22:23], off
	s_add_u32 s18, s18, s16
	s_addc_u32 s19, s19, s17
	s_cmp_eq_u32 s11, 0
	s_waitcnt vmcnt(1)
	v_fma_f64 v[24:25], v[8:9], v[28:29], v[24:25]
	v_fma_f64 v[20:21], v[14:15], v[24:25], v[20:21]
	s_waitcnt vmcnt(0)
	v_fma_f64 v[22:23], v[8:9], v[22:23], v[26:27]
	v_fma_f64 v[20:21], v[16:17], v[22:23], v[20:21]
	v_mov_b32_e32 v22, s13
	global_store_dwordx2 v[18:19], v[20:21], off
	v_add_co_u32_e32 v18, vcc, s12, v18
	v_addc_co_u32_e32 v19, vcc, v19, v22, vcc
	s_cbranch_scc0 .LBB1_14
	s_branch .LBB1_12
.LBB1_15:
	buffer_load_dword v10, off, s[36:39], 0 ; 4-byte Folded Reload
	s_mov_b64 s[6:7], 0
.LBB1_16:
	s_and_b64 vcc, exec, s[6:7]
	s_cbranch_vccz .LBB1_22
; %bb.17:
	s_cmp_lt_i32 s8, 1
	s_cbranch_scc1 .LBB1_22
; %bb.18:
	s_load_dwordx8 s[12:19], s[4:5], 0x48
	s_waitcnt vmcnt(0)
	v_ashrrev_i32_e32 v4, 31, v10
	v_ashrrev_i32_e32 v6, 31, v63
	s_cmp_gt_i32 s10, 0
	s_cselect_b64 s[24:25], -1, 0
	s_waitcnt lgkmcnt(0)
	v_mul_lo_u32 v2, s17, v10
	v_mul_lo_u32 v3, s16, v4
	v_mad_u64_u32 v[0:1], s[0:1], s16, v10, 0
	s_load_dwordx2 s[0:1], s[4:5], 0x20
	s_load_dwordx2 s[2:3], s[4:5], 0x68
	v_add3_u32 v1, v1, v3, v2
	v_mul_lo_u32 v7, s19, v63
	v_mul_lo_u32 v8, s18, v6
	v_mad_u64_u32 v[2:3], s[6:7], s18, v63, 0
	s_load_dwordx8 s[16:23], s[4:5], 0x90
	v_lshlrev_b64 v[0:1], 3, v[0:1]
	s_waitcnt lgkmcnt(0)
	v_mov_b32_e32 v5, s1
	v_add_co_u32_e32 v9, vcc, s0, v0
	v_add3_u32 v3, v3, v8, v7
	v_addc_co_u32_e32 v5, vcc, v5, v1, vcc
	v_lshlrev_b64 v[0:1], 3, v[2:3]
	v_mul_lo_u32 v7, s21, v10
	v_mul_lo_u32 v4, s20, v4
	v_mad_u64_u32 v[2:3], s[0:1], s20, v10, 0
	v_add_co_u32_e32 v0, vcc, v9, v0
	v_addc_co_u32_e32 v1, vcc, v5, v1, vcc
	v_add3_u32 v3, v3, v4, v7
	v_mul_lo_u32 v8, s23, v63
	v_mul_lo_u32 v6, s22, v6
	v_mad_u64_u32 v[4:5], s[0:1], s22, v63, 0
	v_lshlrev_b64 v[2:3], 3, v[2:3]
	v_mov_b32_e32 v7, s3
	v_add_co_u32_e32 v9, vcc, s2, v2
	v_add3_u32 v5, v5, v6, v8
	v_addc_co_u32_e32 v7, vcc, v7, v3, vcc
	v_lshlrev_b64 v[2:3], 3, v[4:5]
	v_cndmask_b32_e64 v4, 0, 1, s[24:25]
	v_add_co_u32_e32 v2, vcc, v9, v2
	s_mov_b32 s9, 0
	v_addc_co_u32_e32 v3, vcc, v7, v3, vcc
	s_lshl_b64 s[2:3], s[16:17], 3
	s_lshl_b64 s[4:5], s[18:19], 3
	;; [unrolled: 1-line block ×4, first 2 shown]
	v_cmp_ne_u32_e64 s[0:1], 1, v4
	s_branch .LBB1_20
.LBB1_19:                               ;   in Loop: Header=BB1_20 Depth=1
	v_mov_b32_e32 v4, s3
	v_add_co_u32_e32 v2, vcc, s2, v2
	v_addc_co_u32_e32 v3, vcc, v3, v4, vcc
	s_add_i32 s9, s9, 1
	v_mov_b32_e32 v4, s7
	v_add_co_u32_e32 v0, vcc, s6, v0
	s_cmp_eq_u32 s9, s8
	v_addc_co_u32_e32 v1, vcc, v1, v4, vcc
	s_cbranch_scc1 .LBB1_22
.LBB1_20:                               ; =>This Loop Header: Depth=1
                                        ;     Child Loop BB1_21 Depth 2
	v_mov_b32_e32 v5, v1
	v_mov_b32_e32 v7, v3
	s_and_b64 vcc, exec, s[0:1]
	v_mov_b32_e32 v4, v0
	v_mov_b32_e32 v6, v2
	s_mov_b32 s11, s10
	s_cbranch_vccnz .LBB1_19
.LBB1_21:                               ;   Parent Loop BB1_20 Depth=1
                                        ; =>  This Inner Loop Header: Depth=2
	global_load_dwordx2 v[8:9], v[4:5], off
	v_mov_b32_e32 v11, s13
	v_add_co_u32_e32 v4, vcc, s12, v4
	v_addc_co_u32_e32 v5, vcc, v5, v11, vcc
	s_add_i32 s11, s11, -1
	v_mov_b32_e32 v10, s5
	s_cmp_eq_u32 s11, 0
	s_waitcnt vmcnt(0)
	global_store_dwordx2 v[6:7], v[8:9], off
	v_add_co_u32_e32 v6, vcc, s4, v6
	v_addc_co_u32_e32 v7, vcc, v7, v10, vcc
	s_cbranch_scc0 .LBB1_21
	s_branch .LBB1_19
.LBB1_22:
	s_endpgm
	.section	.rodata,"a",@progbits
	.p2align	6, 0x0
	.amdhsa_kernel _ZN2at6native12_GLOBAL__N_128upsample_bicubic2d_out_frameIddEEviT0_S3_bN5torch10headeronly6detail27GenericPackedTensorAccessorINS6_14TensorAccessorIN3c108ArrayRefIlEEKT_Lm3ENS5_16DefaultPtrTraitsElEENS_6detail16IndexBoundsCheckILm4ElEESD_Lm4ESE_lEENS7_INS8_ISB_SC_Lm3ESE_lEESI_SC_Lm4ESE_lEE
		.amdhsa_group_segment_fixed_size 0
		.amdhsa_private_segment_fixed_size 8
		.amdhsa_kernarg_size 432
		.amdhsa_user_sgpr_count 6
		.amdhsa_user_sgpr_private_segment_buffer 1
		.amdhsa_user_sgpr_dispatch_ptr 0
		.amdhsa_user_sgpr_queue_ptr 0
		.amdhsa_user_sgpr_kernarg_segment_ptr 1
		.amdhsa_user_sgpr_dispatch_id 0
		.amdhsa_user_sgpr_flat_scratch_init 0
		.amdhsa_user_sgpr_private_segment_size 0
		.amdhsa_uses_dynamic_stack 0
		.amdhsa_system_sgpr_private_segment_wavefront_offset 1
		.amdhsa_system_sgpr_workgroup_id_x 1
		.amdhsa_system_sgpr_workgroup_id_y 0
		.amdhsa_system_sgpr_workgroup_id_z 0
		.amdhsa_system_sgpr_workgroup_info 0
		.amdhsa_system_vgpr_workitem_id 0
		.amdhsa_next_free_vgpr 64
		.amdhsa_next_free_sgpr 40
		.amdhsa_reserve_vcc 1
		.amdhsa_reserve_flat_scratch 0
		.amdhsa_float_round_mode_32 0
		.amdhsa_float_round_mode_16_64 0
		.amdhsa_float_denorm_mode_32 3
		.amdhsa_float_denorm_mode_16_64 3
		.amdhsa_dx10_clamp 1
		.amdhsa_ieee_mode 1
		.amdhsa_fp16_overflow 0
		.amdhsa_exception_fp_ieee_invalid_op 0
		.amdhsa_exception_fp_denorm_src 0
		.amdhsa_exception_fp_ieee_div_zero 0
		.amdhsa_exception_fp_ieee_overflow 0
		.amdhsa_exception_fp_ieee_underflow 0
		.amdhsa_exception_fp_ieee_inexact 0
		.amdhsa_exception_int_div_zero 0
	.end_amdhsa_kernel
	.section	.text._ZN2at6native12_GLOBAL__N_128upsample_bicubic2d_out_frameIddEEviT0_S3_bN5torch10headeronly6detail27GenericPackedTensorAccessorINS6_14TensorAccessorIN3c108ArrayRefIlEEKT_Lm3ENS5_16DefaultPtrTraitsElEENS_6detail16IndexBoundsCheckILm4ElEESD_Lm4ESE_lEENS7_INS8_ISB_SC_Lm3ESE_lEESI_SC_Lm4ESE_lEE,"axG",@progbits,_ZN2at6native12_GLOBAL__N_128upsample_bicubic2d_out_frameIddEEviT0_S3_bN5torch10headeronly6detail27GenericPackedTensorAccessorINS6_14TensorAccessorIN3c108ArrayRefIlEEKT_Lm3ENS5_16DefaultPtrTraitsElEENS_6detail16IndexBoundsCheckILm4ElEESD_Lm4ESE_lEENS7_INS8_ISB_SC_Lm3ESE_lEESI_SC_Lm4ESE_lEE,comdat
.Lfunc_end1:
	.size	_ZN2at6native12_GLOBAL__N_128upsample_bicubic2d_out_frameIddEEviT0_S3_bN5torch10headeronly6detail27GenericPackedTensorAccessorINS6_14TensorAccessorIN3c108ArrayRefIlEEKT_Lm3ENS5_16DefaultPtrTraitsElEENS_6detail16IndexBoundsCheckILm4ElEESD_Lm4ESE_lEENS7_INS8_ISB_SC_Lm3ESE_lEESI_SC_Lm4ESE_lEE, .Lfunc_end1-_ZN2at6native12_GLOBAL__N_128upsample_bicubic2d_out_frameIddEEviT0_S3_bN5torch10headeronly6detail27GenericPackedTensorAccessorINS6_14TensorAccessorIN3c108ArrayRefIlEEKT_Lm3ENS5_16DefaultPtrTraitsElEENS_6detail16IndexBoundsCheckILm4ElEESD_Lm4ESE_lEENS7_INS8_ISB_SC_Lm3ESE_lEESI_SC_Lm4ESE_lEE
                                        ; -- End function
	.set _ZN2at6native12_GLOBAL__N_128upsample_bicubic2d_out_frameIddEEviT0_S3_bN5torch10headeronly6detail27GenericPackedTensorAccessorINS6_14TensorAccessorIN3c108ArrayRefIlEEKT_Lm3ENS5_16DefaultPtrTraitsElEENS_6detail16IndexBoundsCheckILm4ElEESD_Lm4ESE_lEENS7_INS8_ISB_SC_Lm3ESE_lEESI_SC_Lm4ESE_lEE.num_vgpr, 64
	.set _ZN2at6native12_GLOBAL__N_128upsample_bicubic2d_out_frameIddEEviT0_S3_bN5torch10headeronly6detail27GenericPackedTensorAccessorINS6_14TensorAccessorIN3c108ArrayRefIlEEKT_Lm3ENS5_16DefaultPtrTraitsElEENS_6detail16IndexBoundsCheckILm4ElEESD_Lm4ESE_lEENS7_INS8_ISB_SC_Lm3ESE_lEESI_SC_Lm4ESE_lEE.num_agpr, 0
	.set _ZN2at6native12_GLOBAL__N_128upsample_bicubic2d_out_frameIddEEviT0_S3_bN5torch10headeronly6detail27GenericPackedTensorAccessorINS6_14TensorAccessorIN3c108ArrayRefIlEEKT_Lm3ENS5_16DefaultPtrTraitsElEENS_6detail16IndexBoundsCheckILm4ElEESD_Lm4ESE_lEENS7_INS8_ISB_SC_Lm3ESE_lEESI_SC_Lm4ESE_lEE.numbered_sgpr, 40
	.set _ZN2at6native12_GLOBAL__N_128upsample_bicubic2d_out_frameIddEEviT0_S3_bN5torch10headeronly6detail27GenericPackedTensorAccessorINS6_14TensorAccessorIN3c108ArrayRefIlEEKT_Lm3ENS5_16DefaultPtrTraitsElEENS_6detail16IndexBoundsCheckILm4ElEESD_Lm4ESE_lEENS7_INS8_ISB_SC_Lm3ESE_lEESI_SC_Lm4ESE_lEE.num_named_barrier, 0
	.set _ZN2at6native12_GLOBAL__N_128upsample_bicubic2d_out_frameIddEEviT0_S3_bN5torch10headeronly6detail27GenericPackedTensorAccessorINS6_14TensorAccessorIN3c108ArrayRefIlEEKT_Lm3ENS5_16DefaultPtrTraitsElEENS_6detail16IndexBoundsCheckILm4ElEESD_Lm4ESE_lEENS7_INS8_ISB_SC_Lm3ESE_lEESI_SC_Lm4ESE_lEE.private_seg_size, 8
	.set _ZN2at6native12_GLOBAL__N_128upsample_bicubic2d_out_frameIddEEviT0_S3_bN5torch10headeronly6detail27GenericPackedTensorAccessorINS6_14TensorAccessorIN3c108ArrayRefIlEEKT_Lm3ENS5_16DefaultPtrTraitsElEENS_6detail16IndexBoundsCheckILm4ElEESD_Lm4ESE_lEENS7_INS8_ISB_SC_Lm3ESE_lEESI_SC_Lm4ESE_lEE.uses_vcc, 1
	.set _ZN2at6native12_GLOBAL__N_128upsample_bicubic2d_out_frameIddEEviT0_S3_bN5torch10headeronly6detail27GenericPackedTensorAccessorINS6_14TensorAccessorIN3c108ArrayRefIlEEKT_Lm3ENS5_16DefaultPtrTraitsElEENS_6detail16IndexBoundsCheckILm4ElEESD_Lm4ESE_lEENS7_INS8_ISB_SC_Lm3ESE_lEESI_SC_Lm4ESE_lEE.uses_flat_scratch, 0
	.set _ZN2at6native12_GLOBAL__N_128upsample_bicubic2d_out_frameIddEEviT0_S3_bN5torch10headeronly6detail27GenericPackedTensorAccessorINS6_14TensorAccessorIN3c108ArrayRefIlEEKT_Lm3ENS5_16DefaultPtrTraitsElEENS_6detail16IndexBoundsCheckILm4ElEESD_Lm4ESE_lEENS7_INS8_ISB_SC_Lm3ESE_lEESI_SC_Lm4ESE_lEE.has_dyn_sized_stack, 0
	.set _ZN2at6native12_GLOBAL__N_128upsample_bicubic2d_out_frameIddEEviT0_S3_bN5torch10headeronly6detail27GenericPackedTensorAccessorINS6_14TensorAccessorIN3c108ArrayRefIlEEKT_Lm3ENS5_16DefaultPtrTraitsElEENS_6detail16IndexBoundsCheckILm4ElEESD_Lm4ESE_lEENS7_INS8_ISB_SC_Lm3ESE_lEESI_SC_Lm4ESE_lEE.has_recursion, 0
	.set _ZN2at6native12_GLOBAL__N_128upsample_bicubic2d_out_frameIddEEviT0_S3_bN5torch10headeronly6detail27GenericPackedTensorAccessorINS6_14TensorAccessorIN3c108ArrayRefIlEEKT_Lm3ENS5_16DefaultPtrTraitsElEENS_6detail16IndexBoundsCheckILm4ElEESD_Lm4ESE_lEENS7_INS8_ISB_SC_Lm3ESE_lEESI_SC_Lm4ESE_lEE.has_indirect_call, 0
	.section	.AMDGPU.csdata,"",@progbits
; Kernel info:
; codeLenInByte = 2500
; TotalNumSgprs: 44
; NumVgprs: 64
; ScratchSize: 8
; MemoryBound: 0
; FloatMode: 240
; IeeeMode: 1
; LDSByteSize: 0 bytes/workgroup (compile time only)
; SGPRBlocks: 5
; VGPRBlocks: 15
; NumSGPRsForWavesPerEU: 44
; NumVGPRsForWavesPerEU: 64
; Occupancy: 4
; WaveLimiterHint : 1
; COMPUTE_PGM_RSRC2:SCRATCH_EN: 1
; COMPUTE_PGM_RSRC2:USER_SGPR: 6
; COMPUTE_PGM_RSRC2:TRAP_HANDLER: 0
; COMPUTE_PGM_RSRC2:TGID_X_EN: 1
; COMPUTE_PGM_RSRC2:TGID_Y_EN: 0
; COMPUTE_PGM_RSRC2:TGID_Z_EN: 0
; COMPUTE_PGM_RSRC2:TIDIG_COMP_CNT: 0
	.section	.text._ZN2at6native12_GLOBAL__N_137upsample_bicubic2d_out_frame_parallelIffEEviT0_S3_bN5torch10headeronly6detail27GenericPackedTensorAccessorINS6_14TensorAccessorIN3c108ArrayRefIlEEKT_Lm3ENS5_16DefaultPtrTraitsElEENS_6detail16IndexBoundsCheckILm4ElEESD_Lm4ESE_lEENS7_INS8_ISB_SC_Lm3ESE_lEESI_SC_Lm4ESE_lEE,"axG",@progbits,_ZN2at6native12_GLOBAL__N_137upsample_bicubic2d_out_frame_parallelIffEEviT0_S3_bN5torch10headeronly6detail27GenericPackedTensorAccessorINS6_14TensorAccessorIN3c108ArrayRefIlEEKT_Lm3ENS5_16DefaultPtrTraitsElEENS_6detail16IndexBoundsCheckILm4ElEESD_Lm4ESE_lEENS7_INS8_ISB_SC_Lm3ESE_lEESI_SC_Lm4ESE_lEE,comdat
	.globl	_ZN2at6native12_GLOBAL__N_137upsample_bicubic2d_out_frame_parallelIffEEviT0_S3_bN5torch10headeronly6detail27GenericPackedTensorAccessorINS6_14TensorAccessorIN3c108ArrayRefIlEEKT_Lm3ENS5_16DefaultPtrTraitsElEENS_6detail16IndexBoundsCheckILm4ElEESD_Lm4ESE_lEENS7_INS8_ISB_SC_Lm3ESE_lEESI_SC_Lm4ESE_lEE ; -- Begin function _ZN2at6native12_GLOBAL__N_137upsample_bicubic2d_out_frame_parallelIffEEviT0_S3_bN5torch10headeronly6detail27GenericPackedTensorAccessorINS6_14TensorAccessorIN3c108ArrayRefIlEEKT_Lm3ENS5_16DefaultPtrTraitsElEENS_6detail16IndexBoundsCheckILm4ElEESD_Lm4ESE_lEENS7_INS8_ISB_SC_Lm3ESE_lEESI_SC_Lm4ESE_lEE
	.p2align	8
	.type	_ZN2at6native12_GLOBAL__N_137upsample_bicubic2d_out_frame_parallelIffEEviT0_S3_bN5torch10headeronly6detail27GenericPackedTensorAccessorINS6_14TensorAccessorIN3c108ArrayRefIlEEKT_Lm3ENS5_16DefaultPtrTraitsElEENS_6detail16IndexBoundsCheckILm4ElEESD_Lm4ESE_lEENS7_INS8_ISB_SC_Lm3ESE_lEESI_SC_Lm4ESE_lEE,@function
_ZN2at6native12_GLOBAL__N_137upsample_bicubic2d_out_frame_parallelIffEEviT0_S3_bN5torch10headeronly6detail27GenericPackedTensorAccessorINS6_14TensorAccessorIN3c108ArrayRefIlEEKT_Lm3ENS5_16DefaultPtrTraitsElEENS_6detail16IndexBoundsCheckILm4ElEESD_Lm4ESE_lEENS7_INS8_ISB_SC_Lm3ESE_lEESI_SC_Lm4ESE_lEE: ; @_ZN2at6native12_GLOBAL__N_137upsample_bicubic2d_out_frame_parallelIffEEviT0_S3_bN5torch10headeronly6detail27GenericPackedTensorAccessorINS6_14TensorAccessorIN3c108ArrayRefIlEEKT_Lm3ENS5_16DefaultPtrTraitsElEENS_6detail16IndexBoundsCheckILm4ElEESD_Lm4ESE_lEENS7_INS8_ISB_SC_Lm3ESE_lEESI_SC_Lm4ESE_lEE
; %bb.0:
	s_load_dword s0, s[4:5], 0xac
	s_load_dwordx4 s[8:11], s[4:5], 0x0
	s_add_u32 s30, s4, 0xa0
	s_addc_u32 s31, s5, 0
	s_waitcnt lgkmcnt(0)
	s_and_b32 s0, s0, 0xffff
	s_mul_i32 s6, s6, s0
	v_add_u32_e32 v0, s6, v0
	v_cmp_gt_i32_e32 vcc, s8, v0
	s_and_saveexec_b64 s[0:1], vcc
	s_cbranch_execz .LBB2_10
; %bb.1:
	s_load_dwordx4 s[0:3], s[4:5], 0x70
	v_sub_u32_e32 v2, 0, v0
	v_max_i32_e32 v2, v0, v2
	s_waitcnt lgkmcnt(0)
	s_load_dword s1, s[4:5], 0x18
	s_load_dwordx4 s[52:55], s[4:5], 0x20
	s_load_dword s3, s[4:5], 0x30
	s_mov_b64 s[12:13], -1
	s_abs_i32 s8, s2
	v_cvt_f32_u32_e32 v1, s8
	s_sub_i32 s6, 0, s8
	v_xor_b32_e32 v4, s2, v0
	v_ashrrev_i32_e32 v4, 31, v4
	v_rcp_iflag_f32_e32 v1, v1
	s_waitcnt lgkmcnt(0)
	s_cmp_lg_u32 s54, s0
	v_mul_f32_e32 v1, 0x4f7ffffe, v1
	v_cvt_u32_f32_e32 v1, v1
	v_mul_lo_u32 v3, s6, v1
	s_mul_i32 s6, s52, s1
	s_cselect_b64 s[0:1], -1, 0
	s_cmp_lg_u32 s3, s2
	v_mul_hi_u32 v3, v1, v3
	s_cselect_b64 s[14:15], -1, 0
	s_or_b64 s[0:1], s[14:15], s[0:1]
	s_cmp_lt_i32 s7, s6
	v_add_u32_e32 v1, v1, v3
	v_mul_hi_u32 v1, v2, v1
	s_cselect_b64 s[14:15], -1, 0
	v_mul_lo_u32 v3, v1, s8
	v_add_u32_e32 v5, 1, v1
	v_sub_u32_e32 v2, v2, v3
	v_cmp_le_u32_e32 vcc, s8, v2
	v_subrev_u32_e32 v3, s8, v2
	v_cndmask_b32_e32 v1, v1, v5, vcc
	v_cndmask_b32_e32 v2, v2, v3, vcc
	v_add_u32_e32 v3, 1, v1
	v_cmp_le_u32_e32 vcc, s8, v2
	v_cndmask_b32_e32 v1, v1, v3, vcc
	v_xor_b32_e32 v1, v1, v4
	v_sub_u32_e32 v21, v1, v4
	v_mul_lo_u32 v1, v21, s2
	v_cndmask_b32_e64 v2, 0, 1, s[14:15]
	s_and_b64 vcc, exec, s[0:1]
	v_cmp_ne_u32_e64 s[0:1], 1, v2
	v_sub_u32_e32 v20, v0, v1
	s_cbranch_vccz .LBB2_6
; %bb.2:
	s_and_b64 vcc, exec, s[0:1]
	s_cbranch_vccnz .LBB2_5
; %bb.3:
	v_cvt_f32_i32_e32 v0, v21
	v_cvt_f32_i32_e32 v1, v20
	s_bitcmp1_b32 s11, 0
	s_cselect_b64 vcc, -1, 0
	v_mul_f32_e32 v2, s9, v0
	v_add_f32_e32 v0, 0.5, v0
	v_fma_f32 v0, s9, v0, -0.5
	v_cndmask_b32_e32 v6, v0, v2, vcc
	v_mul_f32_e32 v0, s10, v1
	v_add_f32_e32 v1, 0.5, v1
	v_fma_f32 v1, s10, v1, -0.5
	v_cndmask_b32_e32 v13, v1, v0, vcc
	v_floor_f32_e32 v0, v13
	v_cvt_i32_f32_e32 v12, v0
	s_load_dwordx8 s[36:43], s[4:5], 0x38
	v_floor_f32_e32 v0, v6
	v_cvt_i32_f32_e32 v1, v0
	v_add_u32_e32 v0, -1, v12
	s_add_i32 s8, s3, -1
	v_min_i32_e32 v0, s8, v0
	v_max_i32_e32 v4, 0, v0
	s_waitcnt lgkmcnt(0)
	v_mad_u64_u32 v[2:3], s[2:3], s42, v4, 0
	v_cvt_f32_i32_e32 v7, v1
	v_cvt_f32_i32_e32 v15, v12
	v_mov_b32_e32 v0, v3
	v_mad_u64_u32 v[3:4], s[2:3], s43, v4, v[0:1]
	v_min_i32_e32 v0, s8, v12
	v_max_i32_e32 v8, 0, v0
	v_mad_u64_u32 v[4:5], s[2:3], s42, v8, 0
	v_sub_f32_e32 v0, v6, v7
	v_sub_f32_e32 v34, v13, v15
	v_mad_u64_u32 v[5:6], s[2:3], s43, v8, v[5:6]
	v_add_u32_e32 v6, 1, v12
	v_add_u32_e32 v8, 2, v12
	v_min_i32_e32 v6, s8, v6
	v_min_i32_e32 v8, s8, v8
	v_max_i32_e32 v10, 0, v6
	v_max_i32_e32 v14, 0, v8
	v_mad_u64_u32 v[6:7], s[2:3], s42, v10, 0
	v_mad_u64_u32 v[8:9], s[2:3], s42, v14, 0
	v_mov_b32_e32 v22, 0x40400000
	v_sub_f32_e32 v35, 1.0, v34
	v_mad_u64_u32 v[10:11], s[2:3], s43, v10, v[7:8]
	v_mov_b32_e32 v7, v9
	v_mad_u64_u32 v[11:12], s[2:3], s43, v14, v[7:8]
	v_mov_b32_e32 v7, v10
	v_add_f32_e32 v10, 1.0, v34
	v_mov_b32_e32 v9, v11
	v_mov_b32_e32 v11, 0x40700000
	v_fmac_f32_e32 v11, 0xbf400000, v10
	v_mov_b32_e32 v12, 0xc0c00000
	v_fma_f32 v11, v10, v11, v12
	v_fma_f32 v23, v10, v11, v22
	v_add_f32_e32 v10, 1.0, v35
	v_mov_b32_e32 v11, 0x40700000
	v_fmac_f32_e32 v11, 0xbf400000, v10
	s_load_dwordx8 s[44:51], s[4:5], 0x80
	v_fma_f32 v11, v10, v11, v12
	v_fma_f32 v24, v10, v11, v22
	v_add_f32_e32 v10, 1.0, v0
	v_mov_b32_e32 v11, 0x40700000
	v_fmac_f32_e32 v11, 0xbf400000, v10
	v_fma_f32 v11, v10, v11, v12
	v_sub_f32_e32 v36, 1.0, v0
	v_ashrrev_i32_e32 v13, 31, v21
	v_ashrrev_i32_e32 v15, 31, v20
	v_fma_f32 v25, v10, v11, v22
	v_mov_b32_e32 v10, 0x40700000
	v_add_f32_e32 v11, 1.0, v36
	s_waitcnt lgkmcnt(0)
	v_mul_lo_u32 v13, s48, v13
	v_mul_lo_u32 v14, s49, v21
	v_mad_u64_u32 v[16:17], s[2:3], s48, v21, 0
	v_mul_lo_u32 v15, s50, v15
	v_mul_lo_u32 v26, s51, v20
	v_mad_u64_u32 v[18:19], s[2:3], s50, v20, 0
	v_fmac_f32_e32 v10, 0xbf400000, v11
	v_fmac_f32_e32 v12, v11, v10
	s_add_i32 s8, s54, -1
	v_add_u32_e32 v10, -1, v1
	v_fmac_f32_e32 v22, v11, v12
	v_min_i32_e32 v10, s8, v10
	v_min_i32_e32 v12, s8, v1
	v_add3_u32 v17, v17, v13, v14
	v_add3_u32 v19, v19, v15, v26
	v_max_i32_e32 v14, 0, v10
	v_max_i32_e32 v26, 0, v12
	v_mad_u64_u32 v[10:11], s[2:3], s40, v14, 0
	v_mad_u64_u32 v[12:13], s[2:3], s40, v26, 0
	s_abs_i32 s33, s52
	v_lshlrev_b64 v[4:5], 2, v[4:5]
	v_mad_u64_u32 v[14:15], s[2:3], s41, v14, v[11:12]
	v_mov_b32_e32 v11, v13
	v_mad_u64_u32 v[26:27], s[2:3], s41, v26, v[11:12]
	v_add_u32_e32 v11, 1, v1
	v_min_i32_e32 v11, s8, v11
	v_add_u32_e32 v1, 2, v1
	v_max_i32_e32 v11, 0, v11
	v_min_i32_e32 v1, s8, v1
	v_mad_u64_u32 v[30:31], s[2:3], s40, v11, 0
	v_max_i32_e32 v13, 0, v1
	v_mad_u64_u32 v[32:33], s[2:3], s40, v13, 0
	v_mov_b32_e32 v1, v31
	v_mad_u64_u32 v[27:28], s[2:3], s41, v11, v[1:2]
	v_mov_b32_e32 v1, v33
	;; [unrolled: 2-line block ×3, first 2 shown]
	v_mov_b32_e32 v11, v14
	v_fmac_f32_e32 v1, 0x3fa00000, v34
	v_cvt_f32_u32_e32 v14, s33
	v_mul_f32_e32 v1, v34, v1
	v_mov_b32_e32 v13, v26
	v_fma_f32 v26, v34, v1, 1.0
	v_mov_b32_e32 v1, 0xc0100000
	v_fmac_f32_e32 v1, 0x3fa00000, v35
	v_mul_f32_e32 v1, v35, v1
	v_rcp_iflag_f32_e32 v14, v14
	v_mov_b32_e32 v31, v27
	v_fma_f32 v27, v35, v1, 1.0
	v_mov_b32_e32 v1, 0xc0100000
	v_fmac_f32_e32 v1, 0x3fa00000, v0
	v_mul_f32_e32 v1, v0, v1
	v_mov_b32_e32 v33, v28
	v_fma_f32 v28, v0, v1, 1.0
	v_mul_f32_e32 v1, 0x4f7ffffe, v14
	v_cvt_u32_f32_e32 v1, v1
	s_load_dwordx2 s[34:35], s[4:5], 0x10
	s_load_dwordx2 s[40:41], s[4:5], 0x58
	s_load_dword s42, s[30:31], 0x8
	v_mov_b32_e32 v0, 0xc0100000
	v_fmac_f32_e32 v0, 0x3fa00000, v36
	v_readfirstlane_b32 s2, v1
	s_sub_i32 s3, 0, s33
	v_mul_f32_e32 v0, v36, v0
	s_mul_i32 s3, s3, s2
	v_fma_f32 v29, v36, v0, 1.0
	s_mul_hi_u32 s3, s2, s3
	v_lshlrev_b64 v[0:1], 2, v[10:11]
	v_lshlrev_b64 v[2:3], 2, v[2:3]
	v_lshlrev_b64 v[6:7], 2, v[6:7]
	v_lshlrev_b64 v[8:9], 2, v[8:9]
	v_lshlrev_b64 v[10:11], 2, v[12:13]
	v_lshlrev_b64 v[12:13], 2, v[30:31]
	v_lshlrev_b64 v[14:15], 2, v[32:33]
	v_lshlrev_b64 v[16:17], 2, v[16:17]
	v_lshlrev_b64 v[18:19], 2, v[18:19]
	s_ashr_i32 s43, s52, 31
	s_add_i32 s48, s2, s3
	s_sub_i32 s49, 0, s52
	s_mov_b32 s50, s7
.LBB2_4:                                ; =>This Inner Loop Header: Depth=1
	s_abs_i32 s3, s50
	s_mul_hi_u32 s8, s3, s48
	s_mul_i32 s9, s8, s33
	s_ashr_i32 s2, s50, 31
	s_sub_i32 s3, s3, s9
	s_xor_b32 s2, s2, s43
	s_add_i32 s10, s8, 1
	s_sub_i32 s9, s3, s33
	s_cmp_ge_u32 s3, s33
	s_cselect_b32 s8, s10, s8
	s_cselect_b32 s3, s9, s3
	s_add_i32 s9, s8, 1
	s_cmp_ge_u32 s3, s33
	s_cselect_b32 s3, s9, s8
	s_xor_b32 s3, s3, s2
	s_sub_i32 s53, s3, s2
	s_mul_i32 s3, s49, s53
	s_ashr_i32 s54, s53, 31
	s_mul_hi_u32 s8, s36, s53
	s_add_i32 s51, s50, s3
	s_mul_i32 s3, s36, s54
	s_mul_i32 s9, s37, s53
	s_add_i32 s3, s8, s3
	s_mul_i32 s2, s36, s53
	s_add_i32 s3, s3, s9
	s_lshl_b64 s[2:3], s[2:3], 2
	s_waitcnt lgkmcnt(0)
	s_add_u32 s12, s34, s2
	s_addc_u32 s13, s35, s3
	s_ashr_i32 s55, s51, 31
	s_mul_hi_u32 s10, s38, s51
	s_mul_i32 s2, s38, s55
	s_mul_i32 s11, s39, s51
	s_add_i32 s2, s10, s2
	s_mul_i32 s8, s38, s51
	s_add_i32 s9, s2, s11
	s_lshl_b64 s[2:3], s[8:9], 2
	s_add_u32 s10, s12, s2
	s_addc_u32 s8, s13, s3
	v_mov_b32_e32 v30, s8
	v_mov_b32_e32 v31, s8
	v_add_co_u32_e32 v37, vcc, s10, v10
	v_mov_b32_e32 v33, s8
	v_add_co_u32_e64 v35, s[2:3], s10, v12
	v_mov_b32_e32 v39, s8
	v_add_co_u32_e64 v60, s[8:9], s10, v14
	v_add_co_u32_e64 v41, s[10:11], s10, v0
	v_addc_co_u32_e64 v43, s[10:11], v30, v1, s[10:11]
	v_add_co_u32_e64 v30, s[10:11], v41, v4
	v_add_co_u32_e64 v32, s[12:13], v41, v6
	;; [unrolled: 1-line block ×3, first 2 shown]
	v_addc_co_u32_e64 v49, s[2:3], v33, v13, s[2:3]
	v_addc_co_u32_e32 v45, vcc, v31, v11, vcc
	v_add_co_u32_e64 v42, s[2:3], v35, v2
	v_add_co_u32_e64 v44, s[20:21], v35, v4
	;; [unrolled: 1-line block ×4, first 2 shown]
	v_addc_co_u32_e64 v31, s[10:11], v43, v5, s[10:11]
	v_addc_co_u32_e64 v33, s[10:11], v43, v7, s[12:13]
	;; [unrolled: 1-line block ×3, first 2 shown]
	v_add_co_u32_e32 v36, vcc, v37, v4
	v_add_co_u32_e64 v38, s[16:17], v37, v6
	v_add_co_u32_e64 v40, s[18:19], v37, v8
	;; [unrolled: 1-line block ×4, first 2 shown]
	v_addc_co_u32_e64 v61, s[8:9], v39, v15, s[8:9]
	v_addc_co_u32_e64 v55, s[28:29], v43, v3, s[28:29]
	;; [unrolled: 1-line block ×3, first 2 shown]
	v_addc_co_u32_e32 v37, vcc, v45, v5, vcc
	v_addc_co_u32_e64 v39, vcc, v45, v7, s[16:17]
	v_addc_co_u32_e64 v41, vcc, v45, v9, s[18:19]
	;; [unrolled: 1-line block ×6, first 2 shown]
	v_add_co_u32_e64 v50, s[8:9], v60, v4
	v_add_co_u32_e64 v52, s[26:27], v60, v6
	v_add_co_u32_e32 v58, vcc, v60, v2
	v_addc_co_u32_e32 v59, vcc, v61, v3, vcc
	v_addc_co_u32_e64 v51, vcc, v61, v5, s[8:9]
	v_addc_co_u32_e64 v53, vcc, v61, v7, s[26:27]
	v_add_co_u32_e32 v60, vcc, v60, v8
	v_addc_co_u32_e32 v61, vcc, v61, v9, vcc
	global_load_dword v62, v[30:31], off
	s_nop 0
	global_load_dword v36, v[36:37], off
	s_nop 0
	;; [unrolled: 2-line block ×3, first 2 shown]
	global_load_dword v38, v[40:41], off
	global_load_dword v39, v[56:57], off
	s_nop 0
	global_load_dword v32, v[32:33], off
	s_nop 0
	;; [unrolled: 2-line block ×3, first 2 shown]
	global_load_dword v34, v[54:55], off
	global_load_dword v35, v[44:45], off
	;; [unrolled: 1-line block ×4, first 2 shown]
	s_nop 0
	global_load_dword v44, v[48:49], off
	s_nop 0
	global_load_dword v42, v[42:43], off
	;; [unrolled: 2-line block ×3, first 2 shown]
	global_load_dword v45, v[60:61], off
	global_load_dword v46, v[58:59], off
	s_mul_hi_u32 s3, s44, s53
	s_mul_i32 s10, s44, s54
	s_mul_i32 s9, s45, s53
	s_add_i32 s3, s3, s10
	s_mul_i32 s2, s44, s53
	s_add_i32 s3, s3, s9
	s_lshl_b64 s[2:3], s[2:3], 2
	s_mul_hi_u32 s11, s46, s51
	s_mul_i32 s13, s46, s55
	s_add_u32 s10, s40, s2
	s_mul_i32 s12, s47, s51
	s_addc_u32 s14, s41, s3
	s_add_i32 s2, s11, s13
	s_mul_i32 s8, s46, s51
	s_add_i32 s9, s2, s12
	s_lshl_b64 s[2:3], s[8:9], 2
	s_add_u32 s2, s10, s2
	s_addc_u32 s3, s14, s3
	v_mov_b32_e32 v30, s3
	v_add_co_u32_e32 v31, vcc, s2, v16
	v_addc_co_u32_e32 v47, vcc, v30, v17, vcc
	v_add_co_u32_e32 v30, vcc, v31, v18
	v_addc_co_u32_e32 v31, vcc, v47, v19, vcc
	s_add_i32 s50, s50, s42
	s_cmp_lt_i32 s50, s6
	s_waitcnt vmcnt(15)
	v_mul_f32_e32 v47, v26, v62
	s_waitcnt vmcnt(14)
	v_mul_f32_e32 v36, v26, v36
	s_waitcnt vmcnt(11)
	v_fmac_f32_e32 v36, v23, v39
	v_fmac_f32_e32 v36, v27, v37
	;; [unrolled: 1-line block ×3, first 2 shown]
	s_waitcnt vmcnt(8)
	v_fmac_f32_e32 v47, v23, v34
	s_waitcnt vmcnt(7)
	v_mul_f32_e32 v35, v26, v35
	s_waitcnt vmcnt(6)
	v_mul_f32_e32 v40, v26, v40
	v_fmac_f32_e32 v47, v27, v32
	v_fmac_f32_e32 v47, v24, v33
	s_waitcnt vmcnt(3)
	v_fmac_f32_e32 v35, v23, v42
	v_fmac_f32_e32 v35, v27, v41
	v_mul_f32_e32 v32, v28, v36
	s_waitcnt vmcnt(0)
	v_fmac_f32_e32 v40, v23, v46
	v_fmac_f32_e32 v40, v27, v43
	;; [unrolled: 1-line block ×7, first 2 shown]
	global_store_dword v[30:31], v32, off
	s_cbranch_scc1 .LBB2_4
.LBB2_5:
	s_mov_b64 s[12:13], 0
.LBB2_6:
	s_andn2_b64 vcc, exec, s[12:13]
	s_cbranch_vccnz .LBB2_10
; %bb.7:
	s_and_b64 vcc, exec, s[0:1]
	s_cbranch_vccnz .LBB2_10
; %bb.8:
	s_load_dwordx8 s[8:15], s[4:5], 0x38
	v_ashrrev_i32_e32 v4, 31, v21
	s_load_dwordx8 s[16:23], s[4:5], 0x80
	v_ashrrev_i32_e32 v6, 31, v20
	s_waitcnt lgkmcnt(0)
	v_mul_lo_u32 v2, s13, v21
	v_mul_lo_u32 v3, s12, v4
	v_mad_u64_u32 v[0:1], s[0:1], s12, v21, 0
	s_load_dwordx2 s[0:1], s[4:5], 0x10
	s_load_dwordx2 s[2:3], s[4:5], 0x58
	v_mul_lo_u32 v11, s20, v4
	v_add3_u32 v1, v1, v3, v2
	v_mad_u64_u32 v[2:3], s[4:5], s14, v20, 0
	v_mad_u64_u32 v[4:5], s[4:5], s20, v21, 0
	s_abs_i32 s4, s52
	v_cvt_f32_u32_e32 v13, s4
	v_mul_lo_u32 v8, s15, v20
	v_mul_lo_u32 v9, s14, v6
	;; [unrolled: 1-line block ×3, first 2 shown]
	v_rcp_iflag_f32_e32 v13, v13
	v_mul_lo_u32 v12, s23, v20
	v_add3_u32 v3, v3, v9, v8
	v_mul_lo_u32 v14, s22, v6
	v_mul_f32_e32 v8, 0x4f7ffffe, v13
	v_cvt_u32_f32_e32 v8, v8
	v_mad_u64_u32 v[6:7], s[12:13], s22, v20, 0
	s_load_dword s5, s[30:31], 0x8
	s_sub_i32 s13, 0, s4
	v_readfirstlane_b32 s14, v8
	v_add3_u32 v5, v5, v11, v10
	v_add3_u32 v7, v7, v14, v12
	s_mul_i32 s13, s13, s14
	s_mul_hi_u32 s13, s14, s13
	v_lshlrev_b64 v[0:1], 2, v[0:1]
	v_lshlrev_b64 v[2:3], 2, v[2:3]
	;; [unrolled: 1-line block ×4, first 2 shown]
	s_ashr_i32 s12, s52, 31
	s_add_i32 s13, s14, s13
	s_sub_i32 s14, 0, s52
.LBB2_9:                                ; =>This Inner Loop Header: Depth=1
	s_abs_i32 s20, s7
	s_mul_hi_u32 s21, s20, s13
	s_mul_i32 s22, s21, s4
	s_ashr_i32 s15, s7, 31
	s_sub_i32 s20, s20, s22
	s_xor_b32 s15, s15, s12
	s_add_i32 s23, s21, 1
	s_sub_i32 s22, s20, s4
	s_cmp_ge_u32 s20, s4
	s_cselect_b32 s21, s23, s21
	s_cselect_b32 s20, s22, s20
	s_add_i32 s22, s21, 1
	s_cmp_ge_u32 s20, s4
	s_cselect_b32 s20, s22, s21
	s_xor_b32 s20, s20, s15
	s_sub_i32 s15, s20, s15
	s_mul_i32 s21, s14, s15
	s_ashr_i32 s24, s15, 31
	s_mul_hi_u32 s22, s8, s15
	s_add_i32 s25, s7, s21
	s_mul_i32 s21, s8, s24
	s_mul_i32 s23, s9, s15
	s_add_i32 s21, s22, s21
	s_mul_i32 s20, s8, s15
	s_add_i32 s21, s21, s23
	s_lshl_b64 s[20:21], s[20:21], 2
	s_waitcnt lgkmcnt(0)
	s_add_u32 s28, s0, s20
	s_addc_u32 s29, s1, s21
	s_ashr_i32 s30, s25, 31
	s_mul_hi_u32 s26, s10, s25
	s_mul_i32 s20, s10, s30
	s_mul_i32 s27, s11, s25
	s_add_i32 s20, s26, s20
	s_mul_i32 s22, s10, s25
	s_add_i32 s23, s20, s27
	s_lshl_b64 s[20:21], s[22:23], 2
	s_add_u32 s20, s28, s20
	s_addc_u32 s21, s29, s21
	v_mov_b32_e32 v8, s21
	v_add_co_u32_e32 v9, vcc, s20, v0
	v_addc_co_u32_e32 v10, vcc, v8, v1, vcc
	v_add_co_u32_e32 v8, vcc, v9, v2
	v_addc_co_u32_e32 v9, vcc, v10, v3, vcc
	global_load_dword v10, v[8:9], off
	s_mul_hi_u32 s21, s16, s15
	s_mul_i32 s23, s17, s15
	s_mul_i32 s20, s16, s15
	;; [unrolled: 1-line block ×3, first 2 shown]
	s_add_i32 s15, s21, s15
	s_add_i32 s21, s15, s23
	s_lshl_b64 s[20:21], s[20:21], 2
	s_mul_hi_u32 s24, s18, s25
	s_mul_i32 s26, s19, s25
	s_mul_i32 s22, s18, s25
	;; [unrolled: 1-line block ×3, first 2 shown]
	s_add_u32 s15, s2, s20
	s_addc_u32 s27, s3, s21
	s_add_i32 s20, s24, s25
	s_add_i32 s23, s20, s26
	s_lshl_b64 s[20:21], s[22:23], 2
	s_add_u32 s15, s15, s20
	s_addc_u32 s20, s27, s21
	v_mov_b32_e32 v8, s20
	v_add_co_u32_e32 v9, vcc, s15, v4
	v_addc_co_u32_e32 v11, vcc, v8, v5, vcc
	s_add_i32 s7, s7, s5
	v_add_co_u32_e32 v8, vcc, v9, v6
	s_cmp_ge_i32 s7, s6
	v_addc_co_u32_e32 v9, vcc, v11, v7, vcc
	s_waitcnt vmcnt(0)
	global_store_dword v[8:9], v10, off
	s_cbranch_scc0 .LBB2_9
.LBB2_10:
	s_endpgm
	.section	.rodata,"a",@progbits
	.p2align	6, 0x0
	.amdhsa_kernel _ZN2at6native12_GLOBAL__N_137upsample_bicubic2d_out_frame_parallelIffEEviT0_S3_bN5torch10headeronly6detail27GenericPackedTensorAccessorINS6_14TensorAccessorIN3c108ArrayRefIlEEKT_Lm3ENS5_16DefaultPtrTraitsElEENS_6detail16IndexBoundsCheckILm4ElEESD_Lm4ESE_lEENS7_INS8_ISB_SC_Lm3ESE_lEESI_SC_Lm4ESE_lEE
		.amdhsa_group_segment_fixed_size 0
		.amdhsa_private_segment_fixed_size 0
		.amdhsa_kernarg_size 416
		.amdhsa_user_sgpr_count 6
		.amdhsa_user_sgpr_private_segment_buffer 1
		.amdhsa_user_sgpr_dispatch_ptr 0
		.amdhsa_user_sgpr_queue_ptr 0
		.amdhsa_user_sgpr_kernarg_segment_ptr 1
		.amdhsa_user_sgpr_dispatch_id 0
		.amdhsa_user_sgpr_flat_scratch_init 0
		.amdhsa_user_sgpr_private_segment_size 0
		.amdhsa_uses_dynamic_stack 0
		.amdhsa_system_sgpr_private_segment_wavefront_offset 0
		.amdhsa_system_sgpr_workgroup_id_x 1
		.amdhsa_system_sgpr_workgroup_id_y 0
		.amdhsa_system_sgpr_workgroup_id_z 1
		.amdhsa_system_sgpr_workgroup_info 0
		.amdhsa_system_vgpr_workitem_id 0
		.amdhsa_next_free_vgpr 63
		.amdhsa_next_free_sgpr 56
		.amdhsa_reserve_vcc 1
		.amdhsa_reserve_flat_scratch 0
		.amdhsa_float_round_mode_32 0
		.amdhsa_float_round_mode_16_64 0
		.amdhsa_float_denorm_mode_32 3
		.amdhsa_float_denorm_mode_16_64 3
		.amdhsa_dx10_clamp 1
		.amdhsa_ieee_mode 1
		.amdhsa_fp16_overflow 0
		.amdhsa_exception_fp_ieee_invalid_op 0
		.amdhsa_exception_fp_denorm_src 0
		.amdhsa_exception_fp_ieee_div_zero 0
		.amdhsa_exception_fp_ieee_overflow 0
		.amdhsa_exception_fp_ieee_underflow 0
		.amdhsa_exception_fp_ieee_inexact 0
		.amdhsa_exception_int_div_zero 0
	.end_amdhsa_kernel
	.section	.text._ZN2at6native12_GLOBAL__N_137upsample_bicubic2d_out_frame_parallelIffEEviT0_S3_bN5torch10headeronly6detail27GenericPackedTensorAccessorINS6_14TensorAccessorIN3c108ArrayRefIlEEKT_Lm3ENS5_16DefaultPtrTraitsElEENS_6detail16IndexBoundsCheckILm4ElEESD_Lm4ESE_lEENS7_INS8_ISB_SC_Lm3ESE_lEESI_SC_Lm4ESE_lEE,"axG",@progbits,_ZN2at6native12_GLOBAL__N_137upsample_bicubic2d_out_frame_parallelIffEEviT0_S3_bN5torch10headeronly6detail27GenericPackedTensorAccessorINS6_14TensorAccessorIN3c108ArrayRefIlEEKT_Lm3ENS5_16DefaultPtrTraitsElEENS_6detail16IndexBoundsCheckILm4ElEESD_Lm4ESE_lEENS7_INS8_ISB_SC_Lm3ESE_lEESI_SC_Lm4ESE_lEE,comdat
.Lfunc_end2:
	.size	_ZN2at6native12_GLOBAL__N_137upsample_bicubic2d_out_frame_parallelIffEEviT0_S3_bN5torch10headeronly6detail27GenericPackedTensorAccessorINS6_14TensorAccessorIN3c108ArrayRefIlEEKT_Lm3ENS5_16DefaultPtrTraitsElEENS_6detail16IndexBoundsCheckILm4ElEESD_Lm4ESE_lEENS7_INS8_ISB_SC_Lm3ESE_lEESI_SC_Lm4ESE_lEE, .Lfunc_end2-_ZN2at6native12_GLOBAL__N_137upsample_bicubic2d_out_frame_parallelIffEEviT0_S3_bN5torch10headeronly6detail27GenericPackedTensorAccessorINS6_14TensorAccessorIN3c108ArrayRefIlEEKT_Lm3ENS5_16DefaultPtrTraitsElEENS_6detail16IndexBoundsCheckILm4ElEESD_Lm4ESE_lEENS7_INS8_ISB_SC_Lm3ESE_lEESI_SC_Lm4ESE_lEE
                                        ; -- End function
	.set _ZN2at6native12_GLOBAL__N_137upsample_bicubic2d_out_frame_parallelIffEEviT0_S3_bN5torch10headeronly6detail27GenericPackedTensorAccessorINS6_14TensorAccessorIN3c108ArrayRefIlEEKT_Lm3ENS5_16DefaultPtrTraitsElEENS_6detail16IndexBoundsCheckILm4ElEESD_Lm4ESE_lEENS7_INS8_ISB_SC_Lm3ESE_lEESI_SC_Lm4ESE_lEE.num_vgpr, 63
	.set _ZN2at6native12_GLOBAL__N_137upsample_bicubic2d_out_frame_parallelIffEEviT0_S3_bN5torch10headeronly6detail27GenericPackedTensorAccessorINS6_14TensorAccessorIN3c108ArrayRefIlEEKT_Lm3ENS5_16DefaultPtrTraitsElEENS_6detail16IndexBoundsCheckILm4ElEESD_Lm4ESE_lEENS7_INS8_ISB_SC_Lm3ESE_lEESI_SC_Lm4ESE_lEE.num_agpr, 0
	.set _ZN2at6native12_GLOBAL__N_137upsample_bicubic2d_out_frame_parallelIffEEviT0_S3_bN5torch10headeronly6detail27GenericPackedTensorAccessorINS6_14TensorAccessorIN3c108ArrayRefIlEEKT_Lm3ENS5_16DefaultPtrTraitsElEENS_6detail16IndexBoundsCheckILm4ElEESD_Lm4ESE_lEENS7_INS8_ISB_SC_Lm3ESE_lEESI_SC_Lm4ESE_lEE.numbered_sgpr, 56
	.set _ZN2at6native12_GLOBAL__N_137upsample_bicubic2d_out_frame_parallelIffEEviT0_S3_bN5torch10headeronly6detail27GenericPackedTensorAccessorINS6_14TensorAccessorIN3c108ArrayRefIlEEKT_Lm3ENS5_16DefaultPtrTraitsElEENS_6detail16IndexBoundsCheckILm4ElEESD_Lm4ESE_lEENS7_INS8_ISB_SC_Lm3ESE_lEESI_SC_Lm4ESE_lEE.num_named_barrier, 0
	.set _ZN2at6native12_GLOBAL__N_137upsample_bicubic2d_out_frame_parallelIffEEviT0_S3_bN5torch10headeronly6detail27GenericPackedTensorAccessorINS6_14TensorAccessorIN3c108ArrayRefIlEEKT_Lm3ENS5_16DefaultPtrTraitsElEENS_6detail16IndexBoundsCheckILm4ElEESD_Lm4ESE_lEENS7_INS8_ISB_SC_Lm3ESE_lEESI_SC_Lm4ESE_lEE.private_seg_size, 0
	.set _ZN2at6native12_GLOBAL__N_137upsample_bicubic2d_out_frame_parallelIffEEviT0_S3_bN5torch10headeronly6detail27GenericPackedTensorAccessorINS6_14TensorAccessorIN3c108ArrayRefIlEEKT_Lm3ENS5_16DefaultPtrTraitsElEENS_6detail16IndexBoundsCheckILm4ElEESD_Lm4ESE_lEENS7_INS8_ISB_SC_Lm3ESE_lEESI_SC_Lm4ESE_lEE.uses_vcc, 1
	.set _ZN2at6native12_GLOBAL__N_137upsample_bicubic2d_out_frame_parallelIffEEviT0_S3_bN5torch10headeronly6detail27GenericPackedTensorAccessorINS6_14TensorAccessorIN3c108ArrayRefIlEEKT_Lm3ENS5_16DefaultPtrTraitsElEENS_6detail16IndexBoundsCheckILm4ElEESD_Lm4ESE_lEENS7_INS8_ISB_SC_Lm3ESE_lEESI_SC_Lm4ESE_lEE.uses_flat_scratch, 0
	.set _ZN2at6native12_GLOBAL__N_137upsample_bicubic2d_out_frame_parallelIffEEviT0_S3_bN5torch10headeronly6detail27GenericPackedTensorAccessorINS6_14TensorAccessorIN3c108ArrayRefIlEEKT_Lm3ENS5_16DefaultPtrTraitsElEENS_6detail16IndexBoundsCheckILm4ElEESD_Lm4ESE_lEENS7_INS8_ISB_SC_Lm3ESE_lEESI_SC_Lm4ESE_lEE.has_dyn_sized_stack, 0
	.set _ZN2at6native12_GLOBAL__N_137upsample_bicubic2d_out_frame_parallelIffEEviT0_S3_bN5torch10headeronly6detail27GenericPackedTensorAccessorINS6_14TensorAccessorIN3c108ArrayRefIlEEKT_Lm3ENS5_16DefaultPtrTraitsElEENS_6detail16IndexBoundsCheckILm4ElEESD_Lm4ESE_lEENS7_INS8_ISB_SC_Lm3ESE_lEESI_SC_Lm4ESE_lEE.has_recursion, 0
	.set _ZN2at6native12_GLOBAL__N_137upsample_bicubic2d_out_frame_parallelIffEEviT0_S3_bN5torch10headeronly6detail27GenericPackedTensorAccessorINS6_14TensorAccessorIN3c108ArrayRefIlEEKT_Lm3ENS5_16DefaultPtrTraitsElEENS_6detail16IndexBoundsCheckILm4ElEESD_Lm4ESE_lEENS7_INS8_ISB_SC_Lm3ESE_lEESI_SC_Lm4ESE_lEE.has_indirect_call, 0
	.section	.AMDGPU.csdata,"",@progbits
; Kernel info:
; codeLenInByte = 2624
; TotalNumSgprs: 60
; NumVgprs: 63
; ScratchSize: 0
; MemoryBound: 0
; FloatMode: 240
; IeeeMode: 1
; LDSByteSize: 0 bytes/workgroup (compile time only)
; SGPRBlocks: 7
; VGPRBlocks: 15
; NumSGPRsForWavesPerEU: 60
; NumVGPRsForWavesPerEU: 63
; Occupancy: 4
; WaveLimiterHint : 1
; COMPUTE_PGM_RSRC2:SCRATCH_EN: 0
; COMPUTE_PGM_RSRC2:USER_SGPR: 6
; COMPUTE_PGM_RSRC2:TRAP_HANDLER: 0
; COMPUTE_PGM_RSRC2:TGID_X_EN: 1
; COMPUTE_PGM_RSRC2:TGID_Y_EN: 0
; COMPUTE_PGM_RSRC2:TGID_Z_EN: 1
; COMPUTE_PGM_RSRC2:TIDIG_COMP_CNT: 0
	.section	.text._ZN2at6native12_GLOBAL__N_128upsample_bicubic2d_out_frameIffEEviT0_S3_bN5torch10headeronly6detail27GenericPackedTensorAccessorINS6_14TensorAccessorIN3c108ArrayRefIlEEKT_Lm3ENS5_16DefaultPtrTraitsElEENS_6detail16IndexBoundsCheckILm4ElEESD_Lm4ESE_lEENS7_INS8_ISB_SC_Lm3ESE_lEESI_SC_Lm4ESE_lEE,"axG",@progbits,_ZN2at6native12_GLOBAL__N_128upsample_bicubic2d_out_frameIffEEviT0_S3_bN5torch10headeronly6detail27GenericPackedTensorAccessorINS6_14TensorAccessorIN3c108ArrayRefIlEEKT_Lm3ENS5_16DefaultPtrTraitsElEENS_6detail16IndexBoundsCheckILm4ElEESD_Lm4ESE_lEENS7_INS8_ISB_SC_Lm3ESE_lEESI_SC_Lm4ESE_lEE,comdat
	.globl	_ZN2at6native12_GLOBAL__N_128upsample_bicubic2d_out_frameIffEEviT0_S3_bN5torch10headeronly6detail27GenericPackedTensorAccessorINS6_14TensorAccessorIN3c108ArrayRefIlEEKT_Lm3ENS5_16DefaultPtrTraitsElEENS_6detail16IndexBoundsCheckILm4ElEESD_Lm4ESE_lEENS7_INS8_ISB_SC_Lm3ESE_lEESI_SC_Lm4ESE_lEE ; -- Begin function _ZN2at6native12_GLOBAL__N_128upsample_bicubic2d_out_frameIffEEviT0_S3_bN5torch10headeronly6detail27GenericPackedTensorAccessorINS6_14TensorAccessorIN3c108ArrayRefIlEEKT_Lm3ENS5_16DefaultPtrTraitsElEENS_6detail16IndexBoundsCheckILm4ElEESD_Lm4ESE_lEENS7_INS8_ISB_SC_Lm3ESE_lEESI_SC_Lm4ESE_lEE
	.p2align	8
	.type	_ZN2at6native12_GLOBAL__N_128upsample_bicubic2d_out_frameIffEEviT0_S3_bN5torch10headeronly6detail27GenericPackedTensorAccessorINS6_14TensorAccessorIN3c108ArrayRefIlEEKT_Lm3ENS5_16DefaultPtrTraitsElEENS_6detail16IndexBoundsCheckILm4ElEESD_Lm4ESE_lEENS7_INS8_ISB_SC_Lm3ESE_lEESI_SC_Lm4ESE_lEE,@function
_ZN2at6native12_GLOBAL__N_128upsample_bicubic2d_out_frameIffEEviT0_S3_bN5torch10headeronly6detail27GenericPackedTensorAccessorINS6_14TensorAccessorIN3c108ArrayRefIlEEKT_Lm3ENS5_16DefaultPtrTraitsElEENS_6detail16IndexBoundsCheckILm4ElEESD_Lm4ESE_lEENS7_INS8_ISB_SC_Lm3ESE_lEESI_SC_Lm4ESE_lEE: ; @_ZN2at6native12_GLOBAL__N_128upsample_bicubic2d_out_frameIffEEviT0_S3_bN5torch10headeronly6detail27GenericPackedTensorAccessorINS6_14TensorAccessorIN3c108ArrayRefIlEEKT_Lm3ENS5_16DefaultPtrTraitsElEENS_6detail16IndexBoundsCheckILm4ElEESD_Lm4ESE_lEENS7_INS8_ISB_SC_Lm3ESE_lEESI_SC_Lm4ESE_lEE
; %bb.0:
	s_load_dword s7, s[4:5], 0xac
	s_load_dwordx4 s[0:3], s[4:5], 0x0
	s_waitcnt lgkmcnt(0)
	s_and_b32 s7, s7, 0xffff
	s_mul_i32 s6, s6, s7
	v_add_u32_e32 v0, s6, v0
	v_cmp_gt_i32_e32 vcc, s0, v0
	s_and_saveexec_b64 s[6:7], vcc
	s_cbranch_execz .LBB3_14
; %bb.1:
	s_load_dwordx4 s[16:19], s[4:5], 0x70
	v_sub_u32_e32 v3, 0, v0
	v_max_i32_e32 v3, v0, v3
	s_load_dwordx8 s[8:15], s[4:5], 0x18
	s_mov_b64 s[20:21], -1
	s_waitcnt lgkmcnt(0)
	s_abs_i32 s0, s18
	v_cvt_f32_u32_e32 v1, s0
	s_sub_i32 s6, 0, s0
	v_xor_b32_e32 v4, s18, v0
	v_ashrrev_i32_e32 v4, 31, v4
	v_rcp_iflag_f32_e32 v1, v1
	s_cmp_lg_u32 s12, s16
	v_mul_f32_e32 v1, 0x4f7ffffe, v1
	v_cvt_u32_f32_e32 v1, v1
	v_mul_lo_u32 v2, s6, v1
	s_cselect_b64 s[6:7], -1, 0
	s_cmp_lg_u32 s14, s18
	s_cselect_b64 s[16:17], -1, 0
	v_mul_hi_u32 v2, v1, v2
	s_or_b64 s[16:17], s[16:17], s[6:7]
	s_cmp_gt_i32 s8, 0
	s_cselect_b64 s[6:7], -1, 0
	v_add_u32_e32 v1, v1, v2
	v_mul_hi_u32 v1, v3, v1
	v_mul_lo_u32 v2, v1, s0
	v_add_u32_e32 v5, 1, v1
	v_sub_u32_e32 v2, v3, v2
	v_cmp_le_u32_e32 vcc, s0, v2
	v_subrev_u32_e32 v3, s0, v2
	v_cndmask_b32_e32 v1, v1, v5, vcc
	v_cndmask_b32_e32 v2, v2, v3, vcc
	v_add_u32_e32 v3, 1, v1
	v_cmp_le_u32_e32 vcc, s0, v2
	v_cndmask_b32_e32 v1, v1, v3, vcc
	v_xor_b32_e32 v1, v1, v4
	v_sub_u32_e32 v5, v1, v4
	v_mul_lo_u32 v1, v5, s18
	s_and_b64 vcc, exec, s[16:17]
	v_sub_u32_e32 v4, v0, v1
	s_cbranch_vccz .LBB3_8
; %bb.2:
	s_andn2_b64 vcc, exec, s[6:7]
	s_cbranch_vccnz .LBB3_7
; %bb.3:
	v_cvt_f32_i32_e32 v0, v5
	s_bitcmp1_b32 s3, 0
	v_cvt_f32_i32_e32 v1, v4
	s_cselect_b64 vcc, -1, 0
	v_mul_f32_e32 v2, s1, v0
	v_add_f32_e32 v0, 0.5, v0
	v_fma_f32 v0, s1, v0, -0.5
	v_cndmask_b32_e32 v2, v0, v2, vcc
	v_floor_f32_e32 v0, v2
	v_cvt_i32_f32_e32 v36, v0
	v_mul_f32_e32 v0, s2, v1
	v_add_f32_e32 v1, 0.5, v1
	v_fma_f32 v1, s2, v1, -0.5
	v_cndmask_b32_e32 v3, v1, v0, vcc
	v_floor_f32_e32 v0, v3
	v_cvt_i32_f32_e32 v37, v0
	s_cmp_gt_i32 s10, 0
	s_cselect_b64 s[0:1], -1, 0
	s_add_i32 s9, s12, -1
	v_add_u32_e32 v0, -1, v37
	s_add_i32 s11, s14, -1
	s_load_dwordx8 s[20:27], s[4:5], 0x80
	s_load_dwordx8 s[12:19], s[4:5], 0x38
	s_load_dwordx2 s[2:3], s[4:5], 0x58
	v_min_i32_e32 v0, s11, v0
	v_max_i32_e32 v6, 0, v0
	v_ashrrev_i32_e32 v0, 31, v5
	s_waitcnt lgkmcnt(0)
	v_mul_lo_u32 v8, s25, v5
	v_mul_lo_u32 v10, s24, v0
	v_mad_u64_u32 v[0:1], s[24:25], s24, v5, 0
	v_min_i32_e32 v7, s11, v37
	v_max_i32_e32 v16, 0, v7
	v_add_u32_e32 v7, 1, v37
	v_min_i32_e32 v17, s11, v7
	v_ashrrev_i32_e32 v7, 31, v4
	v_add3_u32 v1, v1, v10, v8
	v_mul_lo_u32 v11, s27, v4
	v_mul_lo_u32 v12, s26, v7
	v_mad_u64_u32 v[7:8], s[24:25], s26, v4, 0
	v_lshlrev_b64 v[0:1], 2, v[0:1]
	v_mov_b32_e32 v10, s3
	v_add_co_u32_e32 v13, vcc, s2, v0
	v_add3_u32 v8, v8, v12, v11
	v_add_u32_e32 v9, -1, v36
	v_addc_co_u32_e32 v10, vcc, v10, v1, vcc
	v_lshlrev_b64 v[0:1], 2, v[7:8]
	v_min_i32_e32 v7, s9, v9
	v_max_i32_e32 v11, 0, v7
	v_add_co_u32_e32 v0, vcc, v13, v0
	v_mad_u64_u32 v[7:8], s[2:3], s16, v11, 0
	v_addc_co_u32_e32 v1, vcc, v10, v1, vcc
	v_mad_u64_u32 v[9:10], s[2:3], s18, v6, 0
	v_max_i32_e32 v18, 0, v17
	v_mov_b32_e32 v44, 0x40700000
	v_mad_u64_u32 v[11:12], s[2:3], s17, v11, v[8:9]
	v_mad_u64_u32 v[12:13], s[2:3], s18, v16, 0
	v_mov_b32_e32 v8, v10
	v_mad_u64_u32 v[14:15], s[2:3], s19, v6, v[8:9]
	v_mov_b32_e32 v6, v13
	v_mad_u64_u32 v[15:16], s[2:3], s19, v16, v[6:7]
	v_mad_u64_u32 v[16:17], s[2:3], s18, v18, 0
	v_mov_b32_e32 v10, v14
	v_mov_b32_e32 v13, v15
	v_mov_b32_e32 v6, v17
	v_mad_u64_u32 v[14:15], s[2:3], s19, v18, v[6:7]
	v_add_u32_e32 v6, 2, v37
	v_min_i32_e32 v6, s11, v6
	v_mov_b32_e32 v8, v11
	v_max_i32_e32 v11, 0, v6
	v_min_i32_e32 v6, s9, v36
	v_mov_b32_e32 v17, v14
	v_mad_u64_u32 v[14:15], s[2:3], s18, v11, 0
	v_max_i32_e32 v22, 0, v6
	v_mad_u64_u32 v[18:19], s[2:3], s16, v22, 0
	v_mov_b32_e32 v6, v15
	v_mad_u64_u32 v[20:21], s[2:3], s19, v11, v[6:7]
	v_mov_b32_e32 v6, v19
	v_mad_u64_u32 v[21:22], s[2:3], s17, v22, v[6:7]
	v_add_u32_e32 v6, 1, v36
	v_min_i32_e32 v6, s9, v6
	v_max_i32_e32 v11, 0, v6
	v_add_u32_e32 v6, 2, v36
	v_min_i32_e32 v6, s9, v6
	v_mad_u64_u32 v[22:23], s[2:3], s16, v11, 0
	v_max_i32_e32 v15, 0, v6
	v_mad_u64_u32 v[30:31], s[2:3], s16, v15, 0
	v_mov_b32_e32 v6, v23
	v_mad_u64_u32 v[23:24], s[2:3], s17, v11, v[6:7]
	v_mov_b32_e32 v6, v31
	;; [unrolled: 2-line block ×3, first 2 shown]
	v_mov_b32_e32 v19, v21
	v_lshlrev_b64 v[20:21], 2, v[7:8]
	v_lshlrev_b64 v[32:33], 2, v[9:10]
	;; [unrolled: 1-line block ×3, first 2 shown]
	v_add_co_u32_e32 v6, vcc, v20, v32
	v_addc_co_u32_e32 v7, vcc, v21, v33, vcc
	v_lshlrev_b64 v[38:39], 2, v[16:17]
	v_add_co_u32_e32 v8, vcc, v34, v20
	v_addc_co_u32_e32 v9, vcc, v35, v21, vcc
	v_lshlrev_b64 v[40:41], 2, v[14:15]
	v_add_co_u32_e32 v10, vcc, v20, v38
	v_addc_co_u32_e32 v11, vcc, v21, v39, vcc
	v_add_co_u32_e32 v12, vcc, v20, v40
	v_addc_co_u32_e32 v13, vcc, v21, v41, vcc
	v_lshlrev_b64 v[20:21], 2, v[18:19]
	v_lshlrev_b64 v[28:29], 2, v[22:23]
	v_add_co_u32_e32 v14, vcc, v20, v32
	v_addc_co_u32_e32 v15, vcc, v21, v33, vcc
	v_add_co_u32_e32 v16, vcc, v20, v34
	v_addc_co_u32_e32 v17, vcc, v21, v35, vcc
	;; [unrolled: 2-line block ×5, first 2 shown]
	v_mov_b32_e32 v31, v24
	v_add_co_u32_e32 v24, vcc, v34, v28
	v_addc_co_u32_e32 v25, vcc, v35, v29, vcc
	v_add_co_u32_e32 v26, vcc, v28, v38
	v_addc_co_u32_e32 v27, vcc, v29, v39, vcc
	v_add_co_u32_e32 v28, vcc, v40, v28
	v_lshlrev_b64 v[42:43], 2, v[30:31]
	v_addc_co_u32_e32 v29, vcc, v41, v29, vcc
	v_add_co_u32_e32 v30, vcc, v32, v42
	v_addc_co_u32_e32 v31, vcc, v33, v43, vcc
	v_add_co_u32_e32 v32, vcc, v34, v42
	;; [unrolled: 2-line block ×3, first 2 shown]
	v_addc_co_u32_e32 v35, vcc, v43, v39, vcc
	v_cvt_f32_i32_e32 v39, v37
	v_cvt_f32_i32_e32 v38, v36
	v_add_co_u32_e32 v36, vcc, v42, v40
	v_sub_f32_e32 v3, v3, v39
	v_sub_f32_e32 v2, v2, v38
	v_add_f32_e32 v39, 1.0, v3
	v_mov_b32_e32 v38, 0x40700000
	v_fmac_f32_e32 v38, 0xbf400000, v39
	v_mov_b32_e32 v42, 0xc0c00000
	v_addc_co_u32_e32 v37, vcc, v43, v41, vcc
	v_fma_f32 v40, v39, v38, v42
	v_mov_b32_e32 v38, 0x40400000
	v_sub_f32_e32 v43, 1.0, v3
	v_fma_f32 v39, v39, v40, v38
	v_add_f32_e32 v40, 1.0, v43
	v_mov_b32_e32 v41, 0x40700000
	v_fmac_f32_e32 v41, 0xbf400000, v40
	v_fma_f32 v41, v40, v41, v42
	v_fma_f32 v40, v40, v41, v38
	v_add_f32_e32 v41, 1.0, v2
	v_fmac_f32_e32 v44, 0xbf400000, v41
	v_fma_f32 v44, v41, v44, v42
	v_sub_f32_e32 v45, 1.0, v2
	v_fma_f32 v41, v41, v44, v38
	v_mov_b32_e32 v44, 0x40700000
	v_add_f32_e32 v46, 1.0, v45
	v_fmac_f32_e32 v44, 0xbf400000, v46
	v_fmac_f32_e32 v42, v46, v44
	;; [unrolled: 1-line block ×3, first 2 shown]
	v_mov_b32_e32 v42, 0xc0100000
	v_fmac_f32_e32 v42, 0x3fa00000, v3
	v_mul_f32_e32 v42, v3, v42
	v_fma_f32 v42, v3, v42, 1.0
	v_mov_b32_e32 v3, 0xc0100000
	v_fmac_f32_e32 v3, 0x3fa00000, v43
	v_mul_f32_e32 v3, v43, v3
	v_fma_f32 v43, v43, v3, 1.0
	v_mov_b32_e32 v3, 0xc0100000
	v_fmac_f32_e32 v3, 0x3fa00000, v2
	v_mul_f32_e32 v3, v2, v3
	s_load_dwordx2 s[2:3], s[4:5], 0x10
	v_fma_f32 v44, v2, v3, 1.0
	v_mov_b32_e32 v2, 0xc0100000
	v_fmac_f32_e32 v2, 0x3fa00000, v45
	v_mul_f32_e32 v2, v45, v2
	v_fma_f32 v45, v45, v2, 1.0
	s_mov_b32 s9, 0
	s_lshl_b64 s[16:17], s[20:21], 2
	s_lshl_b64 s[18:19], s[22:23], 2
	;; [unrolled: 1-line block ×4, first 2 shown]
	s_branch .LBB3_5
.LBB3_4:                                ;   in Loop: Header=BB3_5 Depth=1
	s_add_i32 s9, s9, 1
	s_add_u32 s2, s2, s12
	v_mov_b32_e32 v2, s17
	s_addc_u32 s3, s3, s13
	v_add_co_u32_e32 v0, vcc, s16, v0
	s_cmp_eq_u32 s9, s8
	v_addc_co_u32_e32 v1, vcc, v1, v2, vcc
	s_cbranch_scc1 .LBB3_7
.LBB3_5:                                ; =>This Loop Header: Depth=1
                                        ;     Child Loop BB3_6 Depth 2
	v_mov_b32_e32 v3, v1
	s_andn2_b64 vcc, exec, s[0:1]
	s_waitcnt lgkmcnt(0)
	s_mov_b64 s[20:21], s[2:3]
	v_mov_b32_e32 v2, v0
	s_mov_b32 s11, s10
	s_cbranch_vccnz .LBB3_4
.LBB3_6:                                ;   Parent Loop BB3_5 Depth=1
                                        ; =>  This Inner Loop Header: Depth=2
	v_add_co_u32_e32 v48, vcc, s20, v6
	v_mov_b32_e32 v47, s21
	v_addc_co_u32_e32 v49, vcc, v47, v7, vcc
	global_load_dword v50, v[48:49], off
	v_add_co_u32_e32 v48, vcc, s20, v8
	v_addc_co_u32_e32 v49, vcc, v47, v9, vcc
	global_load_dword v46, v[48:49], off
	v_add_co_u32_e32 v48, vcc, s20, v10
	;; [unrolled: 3-line block ×3, first 2 shown]
	v_addc_co_u32_e32 v49, vcc, v47, v13, vcc
	global_load_dword v48, v[48:49], off
	s_add_i32 s11, s11, -1
	s_waitcnt vmcnt(2)
	v_mul_f32_e32 v46, v42, v46
	v_fmac_f32_e32 v46, v39, v50
	s_waitcnt vmcnt(1)
	v_fmac_f32_e32 v46, v43, v51
	s_waitcnt vmcnt(0)
	v_fmac_f32_e32 v46, v40, v48
	v_add_co_u32_e32 v48, vcc, s20, v14
	v_addc_co_u32_e32 v49, vcc, v47, v15, vcc
	global_load_dword v50, v[48:49], off
	v_add_co_u32_e32 v48, vcc, s20, v16
	v_addc_co_u32_e32 v49, vcc, v47, v17, vcc
	global_load_dword v51, v[48:49], off
	v_add_co_u32_e32 v48, vcc, s20, v18
	v_addc_co_u32_e32 v49, vcc, v47, v19, vcc
	global_load_dword v52, v[48:49], off
	v_add_co_u32_e32 v48, vcc, s20, v20
	v_addc_co_u32_e32 v49, vcc, v47, v21, vcc
	global_load_dword v49, v[48:49], off
	s_waitcnt vmcnt(2)
	v_mul_f32_e32 v48, v42, v51
	v_fmac_f32_e32 v48, v39, v50
	s_waitcnt vmcnt(1)
	v_fmac_f32_e32 v48, v43, v52
	s_waitcnt vmcnt(0)
	v_fmac_f32_e32 v48, v40, v49
	v_add_co_u32_e32 v49, vcc, s20, v22
	v_addc_co_u32_e32 v50, vcc, v47, v23, vcc
	global_load_dword v51, v[49:50], off
	v_add_co_u32_e32 v49, vcc, s20, v24
	v_addc_co_u32_e32 v50, vcc, v47, v25, vcc
	global_load_dword v52, v[49:50], off
	v_add_co_u32_e32 v49, vcc, s20, v26
	v_addc_co_u32_e32 v50, vcc, v47, v27, vcc
	global_load_dword v53, v[49:50], off
	v_add_co_u32_e32 v49, vcc, s20, v28
	v_addc_co_u32_e32 v50, vcc, v47, v29, vcc
	global_load_dword v49, v[49:50], off
	;; [unrolled: 19-line block ×3, first 2 shown]
	s_add_u32 s20, s20, s14
	s_addc_u32 s21, s21, s15
	s_cmp_eq_u32 s11, 0
	s_waitcnt vmcnt(2)
	v_mul_f32_e32 v49, v42, v53
	v_fmac_f32_e32 v49, v39, v51
	s_waitcnt vmcnt(1)
	v_fmac_f32_e32 v49, v43, v54
	s_waitcnt vmcnt(0)
	v_fmac_f32_e32 v49, v40, v47
	v_mul_f32_e32 v47, v44, v48
	v_fmac_f32_e32 v47, v41, v46
	v_fmac_f32_e32 v47, v45, v52
	;; [unrolled: 1-line block ×3, first 2 shown]
	global_store_dword v[2:3], v47, off
	v_add_co_u32_e32 v2, vcc, s18, v2
	v_mov_b32_e32 v46, s19
	v_addc_co_u32_e32 v3, vcc, v3, v46, vcc
	s_cbranch_scc0 .LBB3_6
	s_branch .LBB3_4
.LBB3_7:
	s_mov_b64 s[20:21], 0
.LBB3_8:
	s_andn2_b64 vcc, exec, s[20:21]
	s_cbranch_vccnz .LBB3_14
; %bb.9:
	s_andn2_b64 vcc, exec, s[6:7]
	s_cbranch_vccnz .LBB3_14
; %bb.10:
	s_load_dwordx8 s[12:19], s[4:5], 0x38
	v_ashrrev_i32_e32 v6, 31, v5
	v_ashrrev_i32_e32 v8, 31, v4
	s_cmp_gt_i32 s10, 0
	s_cselect_b64 s[24:25], -1, 0
	s_waitcnt lgkmcnt(0)
	v_mul_lo_u32 v2, s17, v5
	v_mul_lo_u32 v3, s16, v6
	v_mad_u64_u32 v[0:1], s[0:1], s16, v5, 0
	s_load_dwordx2 s[0:1], s[4:5], 0x10
	s_load_dwordx2 s[2:3], s[4:5], 0x58
	v_add3_u32 v1, v1, v3, v2
	v_mul_lo_u32 v9, s19, v4
	v_mul_lo_u32 v10, s18, v8
	v_mad_u64_u32 v[2:3], s[6:7], s18, v4, 0
	s_load_dwordx8 s[16:23], s[4:5], 0x80
	v_lshlrev_b64 v[0:1], 2, v[0:1]
	s_waitcnt lgkmcnt(0)
	v_mov_b32_e32 v7, s1
	v_add_co_u32_e32 v11, vcc, s0, v0
	v_add3_u32 v3, v3, v10, v9
	v_addc_co_u32_e32 v7, vcc, v7, v1, vcc
	v_lshlrev_b64 v[0:1], 2, v[2:3]
	v_mul_lo_u32 v9, s21, v5
	v_mul_lo_u32 v6, s20, v6
	v_mad_u64_u32 v[2:3], s[0:1], s20, v5, 0
	v_add_co_u32_e32 v0, vcc, v11, v0
	v_addc_co_u32_e32 v1, vcc, v7, v1, vcc
	v_mul_lo_u32 v7, s23, v4
	v_mul_lo_u32 v8, s22, v8
	v_mad_u64_u32 v[4:5], s[0:1], s22, v4, 0
	v_add3_u32 v3, v3, v6, v9
	v_lshlrev_b64 v[2:3], 2, v[2:3]
	v_mov_b32_e32 v6, s3
	v_add_co_u32_e32 v9, vcc, s2, v2
	v_add3_u32 v5, v5, v8, v7
	v_addc_co_u32_e32 v6, vcc, v6, v3, vcc
	v_lshlrev_b64 v[2:3], 2, v[4:5]
	v_cndmask_b32_e64 v4, 0, 1, s[24:25]
	v_add_co_u32_e32 v2, vcc, v9, v2
	s_mov_b32 s9, 0
	v_addc_co_u32_e32 v3, vcc, v6, v3, vcc
	s_lshl_b64 s[2:3], s[16:17], 2
	s_lshl_b64 s[4:5], s[18:19], 2
	;; [unrolled: 1-line block ×4, first 2 shown]
	v_cmp_ne_u32_e64 s[0:1], 1, v4
	s_branch .LBB3_12
.LBB3_11:                               ;   in Loop: Header=BB3_12 Depth=1
	v_mov_b32_e32 v4, s3
	v_add_co_u32_e32 v2, vcc, s2, v2
	v_addc_co_u32_e32 v3, vcc, v3, v4, vcc
	s_add_i32 s9, s9, 1
	v_mov_b32_e32 v4, s7
	v_add_co_u32_e32 v0, vcc, s6, v0
	s_cmp_eq_u32 s9, s8
	v_addc_co_u32_e32 v1, vcc, v1, v4, vcc
	s_cbranch_scc1 .LBB3_14
.LBB3_12:                               ; =>This Loop Header: Depth=1
                                        ;     Child Loop BB3_13 Depth 2
	v_mov_b32_e32 v5, v1
	v_mov_b32_e32 v7, v3
	s_and_b64 vcc, exec, s[0:1]
	v_mov_b32_e32 v4, v0
	v_mov_b32_e32 v6, v2
	s_mov_b32 s11, s10
	s_cbranch_vccnz .LBB3_11
.LBB3_13:                               ;   Parent Loop BB3_12 Depth=1
                                        ; =>  This Inner Loop Header: Depth=2
	global_load_dword v8, v[4:5], off
	v_mov_b32_e32 v10, s13
	v_add_co_u32_e32 v4, vcc, s12, v4
	v_addc_co_u32_e32 v5, vcc, v5, v10, vcc
	s_add_i32 s11, s11, -1
	v_mov_b32_e32 v9, s5
	s_cmp_eq_u32 s11, 0
	s_waitcnt vmcnt(0)
	global_store_dword v[6:7], v8, off
	v_add_co_u32_e32 v6, vcc, s4, v6
	v_addc_co_u32_e32 v7, vcc, v7, v9, vcc
	s_cbranch_scc0 .LBB3_13
	s_branch .LBB3_11
.LBB3_14:
	s_endpgm
	.section	.rodata,"a",@progbits
	.p2align	6, 0x0
	.amdhsa_kernel _ZN2at6native12_GLOBAL__N_128upsample_bicubic2d_out_frameIffEEviT0_S3_bN5torch10headeronly6detail27GenericPackedTensorAccessorINS6_14TensorAccessorIN3c108ArrayRefIlEEKT_Lm3ENS5_16DefaultPtrTraitsElEENS_6detail16IndexBoundsCheckILm4ElEESD_Lm4ESE_lEENS7_INS8_ISB_SC_Lm3ESE_lEESI_SC_Lm4ESE_lEE
		.amdhsa_group_segment_fixed_size 0
		.amdhsa_private_segment_fixed_size 0
		.amdhsa_kernarg_size 416
		.amdhsa_user_sgpr_count 6
		.amdhsa_user_sgpr_private_segment_buffer 1
		.amdhsa_user_sgpr_dispatch_ptr 0
		.amdhsa_user_sgpr_queue_ptr 0
		.amdhsa_user_sgpr_kernarg_segment_ptr 1
		.amdhsa_user_sgpr_dispatch_id 0
		.amdhsa_user_sgpr_flat_scratch_init 0
		.amdhsa_user_sgpr_private_segment_size 0
		.amdhsa_uses_dynamic_stack 0
		.amdhsa_system_sgpr_private_segment_wavefront_offset 0
		.amdhsa_system_sgpr_workgroup_id_x 1
		.amdhsa_system_sgpr_workgroup_id_y 0
		.amdhsa_system_sgpr_workgroup_id_z 0
		.amdhsa_system_sgpr_workgroup_info 0
		.amdhsa_system_vgpr_workitem_id 0
		.amdhsa_next_free_vgpr 55
		.amdhsa_next_free_sgpr 28
		.amdhsa_reserve_vcc 1
		.amdhsa_reserve_flat_scratch 0
		.amdhsa_float_round_mode_32 0
		.amdhsa_float_round_mode_16_64 0
		.amdhsa_float_denorm_mode_32 3
		.amdhsa_float_denorm_mode_16_64 3
		.amdhsa_dx10_clamp 1
		.amdhsa_ieee_mode 1
		.amdhsa_fp16_overflow 0
		.amdhsa_exception_fp_ieee_invalid_op 0
		.amdhsa_exception_fp_denorm_src 0
		.amdhsa_exception_fp_ieee_div_zero 0
		.amdhsa_exception_fp_ieee_overflow 0
		.amdhsa_exception_fp_ieee_underflow 0
		.amdhsa_exception_fp_ieee_inexact 0
		.amdhsa_exception_int_div_zero 0
	.end_amdhsa_kernel
	.section	.text._ZN2at6native12_GLOBAL__N_128upsample_bicubic2d_out_frameIffEEviT0_S3_bN5torch10headeronly6detail27GenericPackedTensorAccessorINS6_14TensorAccessorIN3c108ArrayRefIlEEKT_Lm3ENS5_16DefaultPtrTraitsElEENS_6detail16IndexBoundsCheckILm4ElEESD_Lm4ESE_lEENS7_INS8_ISB_SC_Lm3ESE_lEESI_SC_Lm4ESE_lEE,"axG",@progbits,_ZN2at6native12_GLOBAL__N_128upsample_bicubic2d_out_frameIffEEviT0_S3_bN5torch10headeronly6detail27GenericPackedTensorAccessorINS6_14TensorAccessorIN3c108ArrayRefIlEEKT_Lm3ENS5_16DefaultPtrTraitsElEENS_6detail16IndexBoundsCheckILm4ElEESD_Lm4ESE_lEENS7_INS8_ISB_SC_Lm3ESE_lEESI_SC_Lm4ESE_lEE,comdat
.Lfunc_end3:
	.size	_ZN2at6native12_GLOBAL__N_128upsample_bicubic2d_out_frameIffEEviT0_S3_bN5torch10headeronly6detail27GenericPackedTensorAccessorINS6_14TensorAccessorIN3c108ArrayRefIlEEKT_Lm3ENS5_16DefaultPtrTraitsElEENS_6detail16IndexBoundsCheckILm4ElEESD_Lm4ESE_lEENS7_INS8_ISB_SC_Lm3ESE_lEESI_SC_Lm4ESE_lEE, .Lfunc_end3-_ZN2at6native12_GLOBAL__N_128upsample_bicubic2d_out_frameIffEEviT0_S3_bN5torch10headeronly6detail27GenericPackedTensorAccessorINS6_14TensorAccessorIN3c108ArrayRefIlEEKT_Lm3ENS5_16DefaultPtrTraitsElEENS_6detail16IndexBoundsCheckILm4ElEESD_Lm4ESE_lEENS7_INS8_ISB_SC_Lm3ESE_lEESI_SC_Lm4ESE_lEE
                                        ; -- End function
	.set _ZN2at6native12_GLOBAL__N_128upsample_bicubic2d_out_frameIffEEviT0_S3_bN5torch10headeronly6detail27GenericPackedTensorAccessorINS6_14TensorAccessorIN3c108ArrayRefIlEEKT_Lm3ENS5_16DefaultPtrTraitsElEENS_6detail16IndexBoundsCheckILm4ElEESD_Lm4ESE_lEENS7_INS8_ISB_SC_Lm3ESE_lEESI_SC_Lm4ESE_lEE.num_vgpr, 55
	.set _ZN2at6native12_GLOBAL__N_128upsample_bicubic2d_out_frameIffEEviT0_S3_bN5torch10headeronly6detail27GenericPackedTensorAccessorINS6_14TensorAccessorIN3c108ArrayRefIlEEKT_Lm3ENS5_16DefaultPtrTraitsElEENS_6detail16IndexBoundsCheckILm4ElEESD_Lm4ESE_lEENS7_INS8_ISB_SC_Lm3ESE_lEESI_SC_Lm4ESE_lEE.num_agpr, 0
	.set _ZN2at6native12_GLOBAL__N_128upsample_bicubic2d_out_frameIffEEviT0_S3_bN5torch10headeronly6detail27GenericPackedTensorAccessorINS6_14TensorAccessorIN3c108ArrayRefIlEEKT_Lm3ENS5_16DefaultPtrTraitsElEENS_6detail16IndexBoundsCheckILm4ElEESD_Lm4ESE_lEENS7_INS8_ISB_SC_Lm3ESE_lEESI_SC_Lm4ESE_lEE.numbered_sgpr, 28
	.set _ZN2at6native12_GLOBAL__N_128upsample_bicubic2d_out_frameIffEEviT0_S3_bN5torch10headeronly6detail27GenericPackedTensorAccessorINS6_14TensorAccessorIN3c108ArrayRefIlEEKT_Lm3ENS5_16DefaultPtrTraitsElEENS_6detail16IndexBoundsCheckILm4ElEESD_Lm4ESE_lEENS7_INS8_ISB_SC_Lm3ESE_lEESI_SC_Lm4ESE_lEE.num_named_barrier, 0
	.set _ZN2at6native12_GLOBAL__N_128upsample_bicubic2d_out_frameIffEEviT0_S3_bN5torch10headeronly6detail27GenericPackedTensorAccessorINS6_14TensorAccessorIN3c108ArrayRefIlEEKT_Lm3ENS5_16DefaultPtrTraitsElEENS_6detail16IndexBoundsCheckILm4ElEESD_Lm4ESE_lEENS7_INS8_ISB_SC_Lm3ESE_lEESI_SC_Lm4ESE_lEE.private_seg_size, 0
	.set _ZN2at6native12_GLOBAL__N_128upsample_bicubic2d_out_frameIffEEviT0_S3_bN5torch10headeronly6detail27GenericPackedTensorAccessorINS6_14TensorAccessorIN3c108ArrayRefIlEEKT_Lm3ENS5_16DefaultPtrTraitsElEENS_6detail16IndexBoundsCheckILm4ElEESD_Lm4ESE_lEENS7_INS8_ISB_SC_Lm3ESE_lEESI_SC_Lm4ESE_lEE.uses_vcc, 1
	.set _ZN2at6native12_GLOBAL__N_128upsample_bicubic2d_out_frameIffEEviT0_S3_bN5torch10headeronly6detail27GenericPackedTensorAccessorINS6_14TensorAccessorIN3c108ArrayRefIlEEKT_Lm3ENS5_16DefaultPtrTraitsElEENS_6detail16IndexBoundsCheckILm4ElEESD_Lm4ESE_lEENS7_INS8_ISB_SC_Lm3ESE_lEESI_SC_Lm4ESE_lEE.uses_flat_scratch, 0
	.set _ZN2at6native12_GLOBAL__N_128upsample_bicubic2d_out_frameIffEEviT0_S3_bN5torch10headeronly6detail27GenericPackedTensorAccessorINS6_14TensorAccessorIN3c108ArrayRefIlEEKT_Lm3ENS5_16DefaultPtrTraitsElEENS_6detail16IndexBoundsCheckILm4ElEESD_Lm4ESE_lEENS7_INS8_ISB_SC_Lm3ESE_lEESI_SC_Lm4ESE_lEE.has_dyn_sized_stack, 0
	.set _ZN2at6native12_GLOBAL__N_128upsample_bicubic2d_out_frameIffEEviT0_S3_bN5torch10headeronly6detail27GenericPackedTensorAccessorINS6_14TensorAccessorIN3c108ArrayRefIlEEKT_Lm3ENS5_16DefaultPtrTraitsElEENS_6detail16IndexBoundsCheckILm4ElEESD_Lm4ESE_lEENS7_INS8_ISB_SC_Lm3ESE_lEESI_SC_Lm4ESE_lEE.has_recursion, 0
	.set _ZN2at6native12_GLOBAL__N_128upsample_bicubic2d_out_frameIffEEviT0_S3_bN5torch10headeronly6detail27GenericPackedTensorAccessorINS6_14TensorAccessorIN3c108ArrayRefIlEEKT_Lm3ENS5_16DefaultPtrTraitsElEENS_6detail16IndexBoundsCheckILm4ElEESD_Lm4ESE_lEENS7_INS8_ISB_SC_Lm3ESE_lEESI_SC_Lm4ESE_lEE.has_indirect_call, 0
	.section	.AMDGPU.csdata,"",@progbits
; Kernel info:
; codeLenInByte = 2196
; TotalNumSgprs: 32
; NumVgprs: 55
; ScratchSize: 0
; MemoryBound: 0
; FloatMode: 240
; IeeeMode: 1
; LDSByteSize: 0 bytes/workgroup (compile time only)
; SGPRBlocks: 3
; VGPRBlocks: 13
; NumSGPRsForWavesPerEU: 32
; NumVGPRsForWavesPerEU: 55
; Occupancy: 4
; WaveLimiterHint : 1
; COMPUTE_PGM_RSRC2:SCRATCH_EN: 0
; COMPUTE_PGM_RSRC2:USER_SGPR: 6
; COMPUTE_PGM_RSRC2:TRAP_HANDLER: 0
; COMPUTE_PGM_RSRC2:TGID_X_EN: 1
; COMPUTE_PGM_RSRC2:TGID_Y_EN: 0
; COMPUTE_PGM_RSRC2:TGID_Z_EN: 0
; COMPUTE_PGM_RSRC2:TIDIG_COMP_CNT: 0
	.section	.text._ZN2at6native12_GLOBAL__N_137upsample_bicubic2d_out_frame_parallelIN3c104HalfEfEEviT0_S5_bN5torch10headeronly6detail27GenericPackedTensorAccessorINS8_14TensorAccessorINS3_8ArrayRefIlEEKT_Lm3ENS7_16DefaultPtrTraitsElEENS_6detail16IndexBoundsCheckILm4ElEESE_Lm4ESF_lEENS9_INSA_ISC_SD_Lm3ESF_lEESJ_SD_Lm4ESF_lEE,"axG",@progbits,_ZN2at6native12_GLOBAL__N_137upsample_bicubic2d_out_frame_parallelIN3c104HalfEfEEviT0_S5_bN5torch10headeronly6detail27GenericPackedTensorAccessorINS8_14TensorAccessorINS3_8ArrayRefIlEEKT_Lm3ENS7_16DefaultPtrTraitsElEENS_6detail16IndexBoundsCheckILm4ElEESE_Lm4ESF_lEENS9_INSA_ISC_SD_Lm3ESF_lEESJ_SD_Lm4ESF_lEE,comdat
	.globl	_ZN2at6native12_GLOBAL__N_137upsample_bicubic2d_out_frame_parallelIN3c104HalfEfEEviT0_S5_bN5torch10headeronly6detail27GenericPackedTensorAccessorINS8_14TensorAccessorINS3_8ArrayRefIlEEKT_Lm3ENS7_16DefaultPtrTraitsElEENS_6detail16IndexBoundsCheckILm4ElEESE_Lm4ESF_lEENS9_INSA_ISC_SD_Lm3ESF_lEESJ_SD_Lm4ESF_lEE ; -- Begin function _ZN2at6native12_GLOBAL__N_137upsample_bicubic2d_out_frame_parallelIN3c104HalfEfEEviT0_S5_bN5torch10headeronly6detail27GenericPackedTensorAccessorINS8_14TensorAccessorINS3_8ArrayRefIlEEKT_Lm3ENS7_16DefaultPtrTraitsElEENS_6detail16IndexBoundsCheckILm4ElEESE_Lm4ESF_lEENS9_INSA_ISC_SD_Lm3ESF_lEESJ_SD_Lm4ESF_lEE
	.p2align	8
	.type	_ZN2at6native12_GLOBAL__N_137upsample_bicubic2d_out_frame_parallelIN3c104HalfEfEEviT0_S5_bN5torch10headeronly6detail27GenericPackedTensorAccessorINS8_14TensorAccessorINS3_8ArrayRefIlEEKT_Lm3ENS7_16DefaultPtrTraitsElEENS_6detail16IndexBoundsCheckILm4ElEESE_Lm4ESF_lEENS9_INSA_ISC_SD_Lm3ESF_lEESJ_SD_Lm4ESF_lEE,@function
_ZN2at6native12_GLOBAL__N_137upsample_bicubic2d_out_frame_parallelIN3c104HalfEfEEviT0_S5_bN5torch10headeronly6detail27GenericPackedTensorAccessorINS8_14TensorAccessorINS3_8ArrayRefIlEEKT_Lm3ENS7_16DefaultPtrTraitsElEENS_6detail16IndexBoundsCheckILm4ElEESE_Lm4ESF_lEENS9_INSA_ISC_SD_Lm3ESF_lEESJ_SD_Lm4ESF_lEE: ; @_ZN2at6native12_GLOBAL__N_137upsample_bicubic2d_out_frame_parallelIN3c104HalfEfEEviT0_S5_bN5torch10headeronly6detail27GenericPackedTensorAccessorINS8_14TensorAccessorINS3_8ArrayRefIlEEKT_Lm3ENS7_16DefaultPtrTraitsElEENS_6detail16IndexBoundsCheckILm4ElEESE_Lm4ESF_lEENS9_INSA_ISC_SD_Lm3ESF_lEESJ_SD_Lm4ESF_lEE
; %bb.0:
	s_load_dword s0, s[4:5], 0xac
	s_load_dwordx4 s[8:11], s[4:5], 0x0
	s_add_u32 s30, s4, 0xa0
	s_addc_u32 s31, s5, 0
	s_waitcnt lgkmcnt(0)
	s_and_b32 s0, s0, 0xffff
	s_mul_i32 s6, s6, s0
	v_add_u32_e32 v0, s6, v0
	v_cmp_gt_i32_e32 vcc, s8, v0
	s_and_saveexec_b64 s[0:1], vcc
	s_cbranch_execz .LBB4_10
; %bb.1:
	s_load_dwordx4 s[0:3], s[4:5], 0x70
	v_sub_u32_e32 v2, 0, v0
	v_max_i32_e32 v2, v0, v2
	s_waitcnt lgkmcnt(0)
	s_load_dword s1, s[4:5], 0x18
	s_load_dwordx4 s[52:55], s[4:5], 0x20
	s_load_dword s3, s[4:5], 0x30
	s_mov_b64 s[12:13], -1
	s_abs_i32 s8, s2
	v_cvt_f32_u32_e32 v1, s8
	s_sub_i32 s6, 0, s8
	v_xor_b32_e32 v4, s2, v0
	v_ashrrev_i32_e32 v4, 31, v4
	v_rcp_iflag_f32_e32 v1, v1
	s_waitcnt lgkmcnt(0)
	s_cmp_lg_u32 s54, s0
	v_mul_f32_e32 v1, 0x4f7ffffe, v1
	v_cvt_u32_f32_e32 v1, v1
	v_mul_lo_u32 v3, s6, v1
	s_mul_i32 s6, s52, s1
	s_cselect_b64 s[0:1], -1, 0
	s_cmp_lg_u32 s3, s2
	v_mul_hi_u32 v3, v1, v3
	s_cselect_b64 s[14:15], -1, 0
	s_or_b64 s[0:1], s[14:15], s[0:1]
	s_cmp_lt_i32 s7, s6
	v_add_u32_e32 v1, v1, v3
	v_mul_hi_u32 v1, v2, v1
	s_cselect_b64 s[14:15], -1, 0
	v_mul_lo_u32 v3, v1, s8
	v_add_u32_e32 v5, 1, v1
	v_sub_u32_e32 v2, v2, v3
	v_cmp_le_u32_e32 vcc, s8, v2
	v_subrev_u32_e32 v3, s8, v2
	v_cndmask_b32_e32 v1, v1, v5, vcc
	v_cndmask_b32_e32 v2, v2, v3, vcc
	v_add_u32_e32 v3, 1, v1
	v_cmp_le_u32_e32 vcc, s8, v2
	v_cndmask_b32_e32 v1, v1, v3, vcc
	v_xor_b32_e32 v1, v1, v4
	v_sub_u32_e32 v21, v1, v4
	v_mul_lo_u32 v1, v21, s2
	v_cndmask_b32_e64 v2, 0, 1, s[14:15]
	s_and_b64 vcc, exec, s[0:1]
	v_cmp_ne_u32_e64 s[0:1], 1, v2
	v_sub_u32_e32 v20, v0, v1
	s_cbranch_vccz .LBB4_6
; %bb.2:
	s_and_b64 vcc, exec, s[0:1]
	s_cbranch_vccnz .LBB4_5
; %bb.3:
	v_cvt_f32_i32_e32 v0, v21
	v_cvt_f32_i32_e32 v1, v20
	s_bitcmp1_b32 s11, 0
	s_cselect_b64 vcc, -1, 0
	v_mul_f32_e32 v2, s9, v0
	v_add_f32_e32 v0, 0.5, v0
	v_fma_f32 v0, s9, v0, -0.5
	v_cndmask_b32_e32 v6, v0, v2, vcc
	v_mul_f32_e32 v0, s10, v1
	v_add_f32_e32 v1, 0.5, v1
	v_fma_f32 v1, s10, v1, -0.5
	v_cndmask_b32_e32 v13, v1, v0, vcc
	v_floor_f32_e32 v0, v13
	v_cvt_i32_f32_e32 v12, v0
	s_load_dwordx8 s[36:43], s[4:5], 0x38
	v_floor_f32_e32 v0, v6
	v_cvt_i32_f32_e32 v1, v0
	v_add_u32_e32 v0, -1, v12
	s_add_i32 s8, s3, -1
	v_min_i32_e32 v0, s8, v0
	v_max_i32_e32 v4, 0, v0
	s_waitcnt lgkmcnt(0)
	v_mad_u64_u32 v[2:3], s[2:3], s42, v4, 0
	v_cvt_f32_i32_e32 v7, v1
	v_cvt_f32_i32_e32 v15, v12
	v_mov_b32_e32 v0, v3
	v_mad_u64_u32 v[3:4], s[2:3], s43, v4, v[0:1]
	v_min_i32_e32 v0, s8, v12
	v_max_i32_e32 v8, 0, v0
	v_mad_u64_u32 v[4:5], s[2:3], s42, v8, 0
	v_sub_f32_e32 v0, v6, v7
	v_sub_f32_e32 v34, v13, v15
	v_mad_u64_u32 v[5:6], s[2:3], s43, v8, v[5:6]
	v_add_u32_e32 v6, 1, v12
	v_add_u32_e32 v8, 2, v12
	v_min_i32_e32 v6, s8, v6
	v_min_i32_e32 v8, s8, v8
	v_max_i32_e32 v10, 0, v6
	v_max_i32_e32 v14, 0, v8
	v_mad_u64_u32 v[6:7], s[2:3], s42, v10, 0
	v_mad_u64_u32 v[8:9], s[2:3], s42, v14, 0
	v_mov_b32_e32 v22, 0x40400000
	v_sub_f32_e32 v35, 1.0, v34
	v_mad_u64_u32 v[10:11], s[2:3], s43, v10, v[7:8]
	v_mov_b32_e32 v7, v9
	v_mad_u64_u32 v[11:12], s[2:3], s43, v14, v[7:8]
	v_mov_b32_e32 v7, v10
	v_add_f32_e32 v10, 1.0, v34
	v_mov_b32_e32 v9, v11
	v_mov_b32_e32 v11, 0x40700000
	v_fmac_f32_e32 v11, 0xbf400000, v10
	v_mov_b32_e32 v12, 0xc0c00000
	v_fma_f32 v11, v10, v11, v12
	v_fma_f32 v23, v10, v11, v22
	v_add_f32_e32 v10, 1.0, v35
	v_mov_b32_e32 v11, 0x40700000
	v_fmac_f32_e32 v11, 0xbf400000, v10
	s_load_dwordx8 s[44:51], s[4:5], 0x80
	v_fma_f32 v11, v10, v11, v12
	v_fma_f32 v24, v10, v11, v22
	v_add_f32_e32 v10, 1.0, v0
	v_mov_b32_e32 v11, 0x40700000
	v_fmac_f32_e32 v11, 0xbf400000, v10
	v_fma_f32 v11, v10, v11, v12
	v_sub_f32_e32 v36, 1.0, v0
	v_ashrrev_i32_e32 v13, 31, v21
	v_ashrrev_i32_e32 v15, 31, v20
	v_fma_f32 v25, v10, v11, v22
	v_mov_b32_e32 v10, 0x40700000
	v_add_f32_e32 v11, 1.0, v36
	s_waitcnt lgkmcnt(0)
	v_mul_lo_u32 v13, s48, v13
	v_mul_lo_u32 v14, s49, v21
	v_mad_u64_u32 v[16:17], s[2:3], s48, v21, 0
	v_mul_lo_u32 v15, s50, v15
	v_mul_lo_u32 v26, s51, v20
	v_mad_u64_u32 v[18:19], s[2:3], s50, v20, 0
	v_fmac_f32_e32 v10, 0xbf400000, v11
	v_fmac_f32_e32 v12, v11, v10
	s_add_i32 s8, s54, -1
	v_add_u32_e32 v10, -1, v1
	v_fmac_f32_e32 v22, v11, v12
	v_min_i32_e32 v10, s8, v10
	v_min_i32_e32 v12, s8, v1
	v_add3_u32 v17, v17, v13, v14
	v_add3_u32 v19, v19, v15, v26
	v_max_i32_e32 v14, 0, v10
	v_max_i32_e32 v26, 0, v12
	v_mad_u64_u32 v[10:11], s[2:3], s40, v14, 0
	v_mad_u64_u32 v[12:13], s[2:3], s40, v26, 0
	s_abs_i32 s33, s52
	v_lshlrev_b64 v[4:5], 1, v[4:5]
	v_mad_u64_u32 v[14:15], s[2:3], s41, v14, v[11:12]
	v_mov_b32_e32 v11, v13
	v_mad_u64_u32 v[26:27], s[2:3], s41, v26, v[11:12]
	v_add_u32_e32 v11, 1, v1
	v_min_i32_e32 v11, s8, v11
	v_add_u32_e32 v1, 2, v1
	v_max_i32_e32 v11, 0, v11
	v_min_i32_e32 v1, s8, v1
	v_mad_u64_u32 v[30:31], s[2:3], s40, v11, 0
	v_max_i32_e32 v13, 0, v1
	v_mad_u64_u32 v[32:33], s[2:3], s40, v13, 0
	v_mov_b32_e32 v1, v31
	v_mad_u64_u32 v[27:28], s[2:3], s41, v11, v[1:2]
	v_mov_b32_e32 v1, v33
	;; [unrolled: 2-line block ×3, first 2 shown]
	v_mov_b32_e32 v11, v14
	v_fmac_f32_e32 v1, 0x3fa00000, v34
	v_cvt_f32_u32_e32 v14, s33
	v_mul_f32_e32 v1, v34, v1
	v_mov_b32_e32 v13, v26
	v_fma_f32 v26, v34, v1, 1.0
	v_mov_b32_e32 v1, 0xc0100000
	v_fmac_f32_e32 v1, 0x3fa00000, v35
	v_mul_f32_e32 v1, v35, v1
	v_rcp_iflag_f32_e32 v14, v14
	v_mov_b32_e32 v31, v27
	v_fma_f32 v27, v35, v1, 1.0
	v_mov_b32_e32 v1, 0xc0100000
	v_fmac_f32_e32 v1, 0x3fa00000, v0
	v_mul_f32_e32 v1, v0, v1
	v_mov_b32_e32 v33, v28
	v_fma_f32 v28, v0, v1, 1.0
	v_mul_f32_e32 v1, 0x4f7ffffe, v14
	v_cvt_u32_f32_e32 v1, v1
	s_load_dwordx2 s[34:35], s[4:5], 0x10
	s_load_dwordx2 s[40:41], s[4:5], 0x58
	s_load_dword s42, s[30:31], 0x8
	v_mov_b32_e32 v0, 0xc0100000
	v_fmac_f32_e32 v0, 0x3fa00000, v36
	v_readfirstlane_b32 s2, v1
	s_sub_i32 s3, 0, s33
	v_mul_f32_e32 v0, v36, v0
	s_mul_i32 s3, s3, s2
	v_fma_f32 v29, v36, v0, 1.0
	s_mul_hi_u32 s3, s2, s3
	v_lshlrev_b64 v[0:1], 1, v[10:11]
	v_lshlrev_b64 v[2:3], 1, v[2:3]
	;; [unrolled: 1-line block ×9, first 2 shown]
	s_ashr_i32 s43, s52, 31
	s_add_i32 s48, s2, s3
	s_sub_i32 s49, 0, s52
	s_mov_b32 s50, s7
.LBB4_4:                                ; =>This Inner Loop Header: Depth=1
	s_abs_i32 s3, s50
	s_mul_hi_u32 s8, s3, s48
	s_mul_i32 s9, s8, s33
	s_ashr_i32 s2, s50, 31
	s_sub_i32 s3, s3, s9
	s_xor_b32 s2, s2, s43
	s_add_i32 s10, s8, 1
	s_sub_i32 s9, s3, s33
	s_cmp_ge_u32 s3, s33
	s_cselect_b32 s8, s10, s8
	s_cselect_b32 s3, s9, s3
	s_add_i32 s9, s8, 1
	s_cmp_ge_u32 s3, s33
	s_cselect_b32 s3, s9, s8
	s_xor_b32 s3, s3, s2
	s_sub_i32 s53, s3, s2
	s_mul_i32 s3, s49, s53
	s_ashr_i32 s54, s53, 31
	s_mul_hi_u32 s8, s36, s53
	s_add_i32 s51, s50, s3
	s_mul_i32 s3, s36, s54
	s_mul_i32 s9, s37, s53
	s_add_i32 s3, s8, s3
	s_mul_i32 s2, s36, s53
	s_add_i32 s3, s3, s9
	s_lshl_b64 s[2:3], s[2:3], 1
	s_waitcnt lgkmcnt(0)
	s_add_u32 s12, s34, s2
	s_addc_u32 s13, s35, s3
	s_ashr_i32 s55, s51, 31
	s_mul_hi_u32 s10, s38, s51
	s_mul_i32 s2, s38, s55
	s_mul_i32 s11, s39, s51
	s_add_i32 s2, s10, s2
	s_mul_i32 s8, s38, s51
	s_add_i32 s9, s2, s11
	s_lshl_b64 s[2:3], s[8:9], 1
	s_add_u32 s10, s12, s2
	s_addc_u32 s8, s13, s3
	v_mov_b32_e32 v30, s8
	v_mov_b32_e32 v31, s8
	v_add_co_u32_e32 v37, vcc, s10, v10
	v_mov_b32_e32 v33, s8
	v_add_co_u32_e64 v35, s[2:3], s10, v12
	v_mov_b32_e32 v39, s8
	v_add_co_u32_e64 v60, s[8:9], s10, v14
	v_add_co_u32_e64 v41, s[10:11], s10, v0
	v_addc_co_u32_e64 v43, s[10:11], v30, v1, s[10:11]
	v_add_co_u32_e64 v30, s[10:11], v41, v4
	v_add_co_u32_e64 v32, s[12:13], v41, v6
	;; [unrolled: 1-line block ×3, first 2 shown]
	v_addc_co_u32_e64 v49, s[2:3], v33, v13, s[2:3]
	v_addc_co_u32_e32 v45, vcc, v31, v11, vcc
	v_add_co_u32_e64 v42, s[2:3], v35, v2
	v_add_co_u32_e64 v44, s[20:21], v35, v4
	;; [unrolled: 1-line block ×4, first 2 shown]
	v_addc_co_u32_e64 v31, s[10:11], v43, v5, s[10:11]
	v_addc_co_u32_e64 v33, s[10:11], v43, v7, s[12:13]
	;; [unrolled: 1-line block ×3, first 2 shown]
	v_add_co_u32_e32 v36, vcc, v37, v4
	v_add_co_u32_e64 v38, s[16:17], v37, v6
	v_add_co_u32_e64 v40, s[18:19], v37, v8
	v_add_co_u32_e64 v54, s[28:29], v41, v2
	v_add_co_u32_e64 v56, s[10:11], v37, v2
	v_addc_co_u32_e64 v61, s[8:9], v39, v15, s[8:9]
	v_addc_co_u32_e64 v55, s[28:29], v43, v3, s[28:29]
	v_addc_co_u32_e64 v57, s[10:11], v45, v3, s[10:11]
	v_addc_co_u32_e32 v37, vcc, v45, v5, vcc
	v_addc_co_u32_e64 v39, vcc, v45, v7, s[16:17]
	v_addc_co_u32_e64 v41, vcc, v45, v9, s[18:19]
	;; [unrolled: 1-line block ×6, first 2 shown]
	v_add_co_u32_e64 v50, s[8:9], v60, v4
	v_add_co_u32_e64 v52, s[26:27], v60, v6
	v_add_co_u32_e32 v58, vcc, v60, v2
	v_addc_co_u32_e32 v59, vcc, v61, v3, vcc
	v_addc_co_u32_e64 v51, vcc, v61, v5, s[8:9]
	v_addc_co_u32_e64 v53, vcc, v61, v7, s[26:27]
	v_add_co_u32_e32 v60, vcc, v60, v8
	v_addc_co_u32_e32 v61, vcc, v61, v9, vcc
	global_load_ushort v44, v[44:45], off
	s_nop 0
	global_load_ushort v45, v[50:51], off
	s_nop 0
	;; [unrolled: 2-line block ×5, first 2 shown]
	global_load_ushort v38, v[40:41], off
	global_load_ushort v39, v[56:57], off
	s_nop 0
	global_load_ushort v32, v[32:33], off
	s_nop 0
	;; [unrolled: 2-line block ×3, first 2 shown]
	global_load_ushort v34, v[54:55], off
	global_load_ushort v35, v[46:47], off
	;; [unrolled: 1-line block ×4, first 2 shown]
	s_nop 0
	global_load_ushort v42, v[52:53], off
	global_load_ushort v43, v[60:61], off
	;; [unrolled: 1-line block ×3, first 2 shown]
	s_mul_hi_u32 s3, s44, s53
	s_mul_i32 s10, s44, s54
	s_mul_i32 s9, s45, s53
	s_add_i32 s3, s3, s10
	s_mul_i32 s2, s44, s53
	s_add_i32 s3, s3, s9
	s_lshl_b64 s[2:3], s[2:3], 1
	s_mul_hi_u32 s11, s46, s51
	s_mul_i32 s13, s46, s55
	s_add_u32 s10, s40, s2
	s_mul_i32 s12, s47, s51
	s_addc_u32 s14, s41, s3
	s_add_i32 s2, s11, s13
	s_mul_i32 s8, s46, s51
	s_add_i32 s9, s2, s12
	s_lshl_b64 s[2:3], s[8:9], 1
	s_add_u32 s2, s10, s2
	s_addc_u32 s3, s14, s3
	v_mov_b32_e32 v30, s3
	v_add_co_u32_e32 v31, vcc, s2, v16
	v_addc_co_u32_e32 v47, vcc, v30, v17, vcc
	v_add_co_u32_e32 v30, vcc, v31, v18
	v_addc_co_u32_e32 v31, vcc, v47, v19, vcc
	s_add_i32 s50, s50, s42
	s_cmp_lt_i32 s50, s6
	s_waitcnt vmcnt(15)
	v_cvt_f32_f16_e32 v44, v44
	s_waitcnt vmcnt(14)
	v_cvt_f32_f16_e32 v45, v45
	;; [unrolled: 2-line block ×4, first 2 shown]
	v_mul_f32_e32 v44, v26, v44
	v_mul_f32_e32 v45, v26, v45
	;; [unrolled: 1-line block ×4, first 2 shown]
	s_waitcnt vmcnt(9)
	v_fma_mix_f32 v36, v23, v39, v36 op_sel_hi:[0,1,0]
	s_waitcnt vmcnt(6)
	v_fma_mix_f32 v34, v23, v34, v47 op_sel_hi:[0,1,0]
	v_fma_mix_f32 v32, v27, v32, v34 op_sel_hi:[0,1,0]
	v_fma_mix_f32 v34, v27, v37, v36 op_sel_hi:[0,1,0]
	s_waitcnt vmcnt(3)
	v_fma_mix_f32 v39, v23, v41, v44 op_sel_hi:[0,1,0]
	v_fma_mix_f32 v32, v24, v33, v32 op_sel_hi:[0,1,0]
	;; [unrolled: 4-line block ×3, first 2 shown]
	v_mul_f32_e32 v33, v28, v33
	v_fma_mix_f32 v36, v27, v42, v41 op_sel_hi:[0,1,0]
	v_fma_mix_f32 v34, v24, v40, v35 op_sel_hi:[0,1,0]
	v_fmac_f32_e32 v33, v25, v32
	v_fma_mix_f32 v35, v24, v43, v36 op_sel_hi:[0,1,0]
	v_fmac_f32_e32 v33, v29, v34
	v_fma_mixlo_f16 v32, v22, v35, v33
	global_store_short v[30:31], v32, off
	s_cbranch_scc1 .LBB4_4
.LBB4_5:
	s_mov_b64 s[12:13], 0
.LBB4_6:
	s_andn2_b64 vcc, exec, s[12:13]
	s_cbranch_vccnz .LBB4_10
; %bb.7:
	s_and_b64 vcc, exec, s[0:1]
	s_cbranch_vccnz .LBB4_10
; %bb.8:
	s_load_dwordx8 s[8:15], s[4:5], 0x38
	v_ashrrev_i32_e32 v4, 31, v21
	s_load_dwordx8 s[16:23], s[4:5], 0x80
	v_ashrrev_i32_e32 v6, 31, v20
	s_waitcnt lgkmcnt(0)
	v_mul_lo_u32 v2, s13, v21
	v_mul_lo_u32 v3, s12, v4
	v_mad_u64_u32 v[0:1], s[0:1], s12, v21, 0
	s_load_dwordx2 s[0:1], s[4:5], 0x10
	s_load_dwordx2 s[2:3], s[4:5], 0x58
	v_mul_lo_u32 v11, s20, v4
	v_add3_u32 v1, v1, v3, v2
	v_mad_u64_u32 v[2:3], s[4:5], s14, v20, 0
	v_mad_u64_u32 v[4:5], s[4:5], s20, v21, 0
	s_abs_i32 s4, s52
	v_cvt_f32_u32_e32 v13, s4
	v_mul_lo_u32 v8, s15, v20
	v_mul_lo_u32 v9, s14, v6
	;; [unrolled: 1-line block ×3, first 2 shown]
	v_rcp_iflag_f32_e32 v13, v13
	v_mul_lo_u32 v12, s23, v20
	v_add3_u32 v3, v3, v9, v8
	v_mul_lo_u32 v14, s22, v6
	v_mul_f32_e32 v8, 0x4f7ffffe, v13
	v_cvt_u32_f32_e32 v8, v8
	v_mad_u64_u32 v[6:7], s[12:13], s22, v20, 0
	s_load_dword s5, s[30:31], 0x8
	s_sub_i32 s13, 0, s4
	v_readfirstlane_b32 s14, v8
	v_add3_u32 v5, v5, v11, v10
	v_add3_u32 v7, v7, v14, v12
	s_mul_i32 s13, s13, s14
	s_mul_hi_u32 s13, s14, s13
	v_lshlrev_b64 v[0:1], 1, v[0:1]
	v_lshlrev_b64 v[2:3], 1, v[2:3]
	;; [unrolled: 1-line block ×4, first 2 shown]
	s_ashr_i32 s12, s52, 31
	s_add_i32 s13, s14, s13
	s_sub_i32 s14, 0, s52
.LBB4_9:                                ; =>This Inner Loop Header: Depth=1
	s_abs_i32 s20, s7
	s_mul_hi_u32 s21, s20, s13
	s_mul_i32 s22, s21, s4
	s_ashr_i32 s15, s7, 31
	s_sub_i32 s20, s20, s22
	s_xor_b32 s15, s15, s12
	s_add_i32 s23, s21, 1
	s_sub_i32 s22, s20, s4
	s_cmp_ge_u32 s20, s4
	s_cselect_b32 s21, s23, s21
	s_cselect_b32 s20, s22, s20
	s_add_i32 s22, s21, 1
	s_cmp_ge_u32 s20, s4
	s_cselect_b32 s20, s22, s21
	s_xor_b32 s20, s20, s15
	s_sub_i32 s15, s20, s15
	s_mul_i32 s21, s14, s15
	s_ashr_i32 s24, s15, 31
	s_mul_hi_u32 s22, s8, s15
	s_add_i32 s25, s7, s21
	s_mul_i32 s21, s8, s24
	s_mul_i32 s23, s9, s15
	s_add_i32 s21, s22, s21
	s_mul_i32 s20, s8, s15
	s_add_i32 s21, s21, s23
	s_lshl_b64 s[20:21], s[20:21], 1
	s_waitcnt lgkmcnt(0)
	s_add_u32 s28, s0, s20
	s_addc_u32 s29, s1, s21
	s_ashr_i32 s30, s25, 31
	s_mul_hi_u32 s26, s10, s25
	s_mul_i32 s20, s10, s30
	s_mul_i32 s27, s11, s25
	s_add_i32 s20, s26, s20
	s_mul_i32 s22, s10, s25
	s_add_i32 s23, s20, s27
	s_lshl_b64 s[20:21], s[22:23], 1
	s_add_u32 s20, s28, s20
	s_addc_u32 s21, s29, s21
	v_mov_b32_e32 v8, s21
	v_add_co_u32_e32 v9, vcc, s20, v0
	v_addc_co_u32_e32 v10, vcc, v8, v1, vcc
	v_add_co_u32_e32 v8, vcc, v9, v2
	v_addc_co_u32_e32 v9, vcc, v10, v3, vcc
	global_load_ushort v10, v[8:9], off
	s_mul_hi_u32 s21, s16, s15
	s_mul_i32 s23, s17, s15
	s_mul_i32 s20, s16, s15
	s_mul_i32 s15, s16, s24
	s_add_i32 s15, s21, s15
	s_add_i32 s21, s15, s23
	s_lshl_b64 s[20:21], s[20:21], 1
	s_mul_hi_u32 s24, s18, s25
	s_mul_i32 s26, s19, s25
	s_mul_i32 s22, s18, s25
	;; [unrolled: 1-line block ×3, first 2 shown]
	s_add_u32 s15, s2, s20
	s_addc_u32 s27, s3, s21
	s_add_i32 s20, s24, s25
	s_add_i32 s23, s20, s26
	s_lshl_b64 s[20:21], s[22:23], 1
	s_add_u32 s15, s15, s20
	s_addc_u32 s20, s27, s21
	v_mov_b32_e32 v8, s20
	v_add_co_u32_e32 v9, vcc, s15, v4
	v_addc_co_u32_e32 v11, vcc, v8, v5, vcc
	s_add_i32 s7, s7, s5
	v_add_co_u32_e32 v8, vcc, v9, v6
	s_cmp_ge_i32 s7, s6
	v_addc_co_u32_e32 v9, vcc, v11, v7, vcc
	s_waitcnt vmcnt(0)
	global_store_short v[8:9], v10, off
	s_cbranch_scc0 .LBB4_9
.LBB4_10:
	s_endpgm
	.section	.rodata,"a",@progbits
	.p2align	6, 0x0
	.amdhsa_kernel _ZN2at6native12_GLOBAL__N_137upsample_bicubic2d_out_frame_parallelIN3c104HalfEfEEviT0_S5_bN5torch10headeronly6detail27GenericPackedTensorAccessorINS8_14TensorAccessorINS3_8ArrayRefIlEEKT_Lm3ENS7_16DefaultPtrTraitsElEENS_6detail16IndexBoundsCheckILm4ElEESE_Lm4ESF_lEENS9_INSA_ISC_SD_Lm3ESF_lEESJ_SD_Lm4ESF_lEE
		.amdhsa_group_segment_fixed_size 0
		.amdhsa_private_segment_fixed_size 0
		.amdhsa_kernarg_size 416
		.amdhsa_user_sgpr_count 6
		.amdhsa_user_sgpr_private_segment_buffer 1
		.amdhsa_user_sgpr_dispatch_ptr 0
		.amdhsa_user_sgpr_queue_ptr 0
		.amdhsa_user_sgpr_kernarg_segment_ptr 1
		.amdhsa_user_sgpr_dispatch_id 0
		.amdhsa_user_sgpr_flat_scratch_init 0
		.amdhsa_user_sgpr_private_segment_size 0
		.amdhsa_uses_dynamic_stack 0
		.amdhsa_system_sgpr_private_segment_wavefront_offset 0
		.amdhsa_system_sgpr_workgroup_id_x 1
		.amdhsa_system_sgpr_workgroup_id_y 0
		.amdhsa_system_sgpr_workgroup_id_z 1
		.amdhsa_system_sgpr_workgroup_info 0
		.amdhsa_system_vgpr_workitem_id 0
		.amdhsa_next_free_vgpr 62
		.amdhsa_next_free_sgpr 56
		.amdhsa_reserve_vcc 1
		.amdhsa_reserve_flat_scratch 0
		.amdhsa_float_round_mode_32 0
		.amdhsa_float_round_mode_16_64 0
		.amdhsa_float_denorm_mode_32 3
		.amdhsa_float_denorm_mode_16_64 3
		.amdhsa_dx10_clamp 1
		.amdhsa_ieee_mode 1
		.amdhsa_fp16_overflow 0
		.amdhsa_exception_fp_ieee_invalid_op 0
		.amdhsa_exception_fp_denorm_src 0
		.amdhsa_exception_fp_ieee_div_zero 0
		.amdhsa_exception_fp_ieee_overflow 0
		.amdhsa_exception_fp_ieee_underflow 0
		.amdhsa_exception_fp_ieee_inexact 0
		.amdhsa_exception_int_div_zero 0
	.end_amdhsa_kernel
	.section	.text._ZN2at6native12_GLOBAL__N_137upsample_bicubic2d_out_frame_parallelIN3c104HalfEfEEviT0_S5_bN5torch10headeronly6detail27GenericPackedTensorAccessorINS8_14TensorAccessorINS3_8ArrayRefIlEEKT_Lm3ENS7_16DefaultPtrTraitsElEENS_6detail16IndexBoundsCheckILm4ElEESE_Lm4ESF_lEENS9_INSA_ISC_SD_Lm3ESF_lEESJ_SD_Lm4ESF_lEE,"axG",@progbits,_ZN2at6native12_GLOBAL__N_137upsample_bicubic2d_out_frame_parallelIN3c104HalfEfEEviT0_S5_bN5torch10headeronly6detail27GenericPackedTensorAccessorINS8_14TensorAccessorINS3_8ArrayRefIlEEKT_Lm3ENS7_16DefaultPtrTraitsElEENS_6detail16IndexBoundsCheckILm4ElEESE_Lm4ESF_lEENS9_INSA_ISC_SD_Lm3ESF_lEESJ_SD_Lm4ESF_lEE,comdat
.Lfunc_end4:
	.size	_ZN2at6native12_GLOBAL__N_137upsample_bicubic2d_out_frame_parallelIN3c104HalfEfEEviT0_S5_bN5torch10headeronly6detail27GenericPackedTensorAccessorINS8_14TensorAccessorINS3_8ArrayRefIlEEKT_Lm3ENS7_16DefaultPtrTraitsElEENS_6detail16IndexBoundsCheckILm4ElEESE_Lm4ESF_lEENS9_INSA_ISC_SD_Lm3ESF_lEESJ_SD_Lm4ESF_lEE, .Lfunc_end4-_ZN2at6native12_GLOBAL__N_137upsample_bicubic2d_out_frame_parallelIN3c104HalfEfEEviT0_S5_bN5torch10headeronly6detail27GenericPackedTensorAccessorINS8_14TensorAccessorINS3_8ArrayRefIlEEKT_Lm3ENS7_16DefaultPtrTraitsElEENS_6detail16IndexBoundsCheckILm4ElEESE_Lm4ESF_lEENS9_INSA_ISC_SD_Lm3ESF_lEESJ_SD_Lm4ESF_lEE
                                        ; -- End function
	.set _ZN2at6native12_GLOBAL__N_137upsample_bicubic2d_out_frame_parallelIN3c104HalfEfEEviT0_S5_bN5torch10headeronly6detail27GenericPackedTensorAccessorINS8_14TensorAccessorINS3_8ArrayRefIlEEKT_Lm3ENS7_16DefaultPtrTraitsElEENS_6detail16IndexBoundsCheckILm4ElEESE_Lm4ESF_lEENS9_INSA_ISC_SD_Lm3ESF_lEESJ_SD_Lm4ESF_lEE.num_vgpr, 62
	.set _ZN2at6native12_GLOBAL__N_137upsample_bicubic2d_out_frame_parallelIN3c104HalfEfEEviT0_S5_bN5torch10headeronly6detail27GenericPackedTensorAccessorINS8_14TensorAccessorINS3_8ArrayRefIlEEKT_Lm3ENS7_16DefaultPtrTraitsElEENS_6detail16IndexBoundsCheckILm4ElEESE_Lm4ESF_lEENS9_INSA_ISC_SD_Lm3ESF_lEESJ_SD_Lm4ESF_lEE.num_agpr, 0
	.set _ZN2at6native12_GLOBAL__N_137upsample_bicubic2d_out_frame_parallelIN3c104HalfEfEEviT0_S5_bN5torch10headeronly6detail27GenericPackedTensorAccessorINS8_14TensorAccessorINS3_8ArrayRefIlEEKT_Lm3ENS7_16DefaultPtrTraitsElEENS_6detail16IndexBoundsCheckILm4ElEESE_Lm4ESF_lEENS9_INSA_ISC_SD_Lm3ESF_lEESJ_SD_Lm4ESF_lEE.numbered_sgpr, 56
	.set _ZN2at6native12_GLOBAL__N_137upsample_bicubic2d_out_frame_parallelIN3c104HalfEfEEviT0_S5_bN5torch10headeronly6detail27GenericPackedTensorAccessorINS8_14TensorAccessorINS3_8ArrayRefIlEEKT_Lm3ENS7_16DefaultPtrTraitsElEENS_6detail16IndexBoundsCheckILm4ElEESE_Lm4ESF_lEENS9_INSA_ISC_SD_Lm3ESF_lEESJ_SD_Lm4ESF_lEE.num_named_barrier, 0
	.set _ZN2at6native12_GLOBAL__N_137upsample_bicubic2d_out_frame_parallelIN3c104HalfEfEEviT0_S5_bN5torch10headeronly6detail27GenericPackedTensorAccessorINS8_14TensorAccessorINS3_8ArrayRefIlEEKT_Lm3ENS7_16DefaultPtrTraitsElEENS_6detail16IndexBoundsCheckILm4ElEESE_Lm4ESF_lEENS9_INSA_ISC_SD_Lm3ESF_lEESJ_SD_Lm4ESF_lEE.private_seg_size, 0
	.set _ZN2at6native12_GLOBAL__N_137upsample_bicubic2d_out_frame_parallelIN3c104HalfEfEEviT0_S5_bN5torch10headeronly6detail27GenericPackedTensorAccessorINS8_14TensorAccessorINS3_8ArrayRefIlEEKT_Lm3ENS7_16DefaultPtrTraitsElEENS_6detail16IndexBoundsCheckILm4ElEESE_Lm4ESF_lEENS9_INSA_ISC_SD_Lm3ESF_lEESJ_SD_Lm4ESF_lEE.uses_vcc, 1
	.set _ZN2at6native12_GLOBAL__N_137upsample_bicubic2d_out_frame_parallelIN3c104HalfEfEEviT0_S5_bN5torch10headeronly6detail27GenericPackedTensorAccessorINS8_14TensorAccessorINS3_8ArrayRefIlEEKT_Lm3ENS7_16DefaultPtrTraitsElEENS_6detail16IndexBoundsCheckILm4ElEESE_Lm4ESF_lEENS9_INSA_ISC_SD_Lm3ESF_lEESJ_SD_Lm4ESF_lEE.uses_flat_scratch, 0
	.set _ZN2at6native12_GLOBAL__N_137upsample_bicubic2d_out_frame_parallelIN3c104HalfEfEEviT0_S5_bN5torch10headeronly6detail27GenericPackedTensorAccessorINS8_14TensorAccessorINS3_8ArrayRefIlEEKT_Lm3ENS7_16DefaultPtrTraitsElEENS_6detail16IndexBoundsCheckILm4ElEESE_Lm4ESF_lEENS9_INSA_ISC_SD_Lm3ESF_lEESJ_SD_Lm4ESF_lEE.has_dyn_sized_stack, 0
	.set _ZN2at6native12_GLOBAL__N_137upsample_bicubic2d_out_frame_parallelIN3c104HalfEfEEviT0_S5_bN5torch10headeronly6detail27GenericPackedTensorAccessorINS8_14TensorAccessorINS3_8ArrayRefIlEEKT_Lm3ENS7_16DefaultPtrTraitsElEENS_6detail16IndexBoundsCheckILm4ElEESE_Lm4ESF_lEENS9_INSA_ISC_SD_Lm3ESF_lEESJ_SD_Lm4ESF_lEE.has_recursion, 0
	.set _ZN2at6native12_GLOBAL__N_137upsample_bicubic2d_out_frame_parallelIN3c104HalfEfEEviT0_S5_bN5torch10headeronly6detail27GenericPackedTensorAccessorINS8_14TensorAccessorINS3_8ArrayRefIlEEKT_Lm3ENS7_16DefaultPtrTraitsElEENS_6detail16IndexBoundsCheckILm4ElEESE_Lm4ESF_lEENS9_INSA_ISC_SD_Lm3ESF_lEESJ_SD_Lm4ESF_lEE.has_indirect_call, 0
	.section	.AMDGPU.csdata,"",@progbits
; Kernel info:
; codeLenInByte = 2692
; TotalNumSgprs: 60
; NumVgprs: 62
; ScratchSize: 0
; MemoryBound: 0
; FloatMode: 240
; IeeeMode: 1
; LDSByteSize: 0 bytes/workgroup (compile time only)
; SGPRBlocks: 7
; VGPRBlocks: 15
; NumSGPRsForWavesPerEU: 60
; NumVGPRsForWavesPerEU: 62
; Occupancy: 4
; WaveLimiterHint : 1
; COMPUTE_PGM_RSRC2:SCRATCH_EN: 0
; COMPUTE_PGM_RSRC2:USER_SGPR: 6
; COMPUTE_PGM_RSRC2:TRAP_HANDLER: 0
; COMPUTE_PGM_RSRC2:TGID_X_EN: 1
; COMPUTE_PGM_RSRC2:TGID_Y_EN: 0
; COMPUTE_PGM_RSRC2:TGID_Z_EN: 1
; COMPUTE_PGM_RSRC2:TIDIG_COMP_CNT: 0
	.section	.text._ZN2at6native12_GLOBAL__N_128upsample_bicubic2d_out_frameIN3c104HalfEfEEviT0_S5_bN5torch10headeronly6detail27GenericPackedTensorAccessorINS8_14TensorAccessorINS3_8ArrayRefIlEEKT_Lm3ENS7_16DefaultPtrTraitsElEENS_6detail16IndexBoundsCheckILm4ElEESE_Lm4ESF_lEENS9_INSA_ISC_SD_Lm3ESF_lEESJ_SD_Lm4ESF_lEE,"axG",@progbits,_ZN2at6native12_GLOBAL__N_128upsample_bicubic2d_out_frameIN3c104HalfEfEEviT0_S5_bN5torch10headeronly6detail27GenericPackedTensorAccessorINS8_14TensorAccessorINS3_8ArrayRefIlEEKT_Lm3ENS7_16DefaultPtrTraitsElEENS_6detail16IndexBoundsCheckILm4ElEESE_Lm4ESF_lEENS9_INSA_ISC_SD_Lm3ESF_lEESJ_SD_Lm4ESF_lEE,comdat
	.globl	_ZN2at6native12_GLOBAL__N_128upsample_bicubic2d_out_frameIN3c104HalfEfEEviT0_S5_bN5torch10headeronly6detail27GenericPackedTensorAccessorINS8_14TensorAccessorINS3_8ArrayRefIlEEKT_Lm3ENS7_16DefaultPtrTraitsElEENS_6detail16IndexBoundsCheckILm4ElEESE_Lm4ESF_lEENS9_INSA_ISC_SD_Lm3ESF_lEESJ_SD_Lm4ESF_lEE ; -- Begin function _ZN2at6native12_GLOBAL__N_128upsample_bicubic2d_out_frameIN3c104HalfEfEEviT0_S5_bN5torch10headeronly6detail27GenericPackedTensorAccessorINS8_14TensorAccessorINS3_8ArrayRefIlEEKT_Lm3ENS7_16DefaultPtrTraitsElEENS_6detail16IndexBoundsCheckILm4ElEESE_Lm4ESF_lEENS9_INSA_ISC_SD_Lm3ESF_lEESJ_SD_Lm4ESF_lEE
	.p2align	8
	.type	_ZN2at6native12_GLOBAL__N_128upsample_bicubic2d_out_frameIN3c104HalfEfEEviT0_S5_bN5torch10headeronly6detail27GenericPackedTensorAccessorINS8_14TensorAccessorINS3_8ArrayRefIlEEKT_Lm3ENS7_16DefaultPtrTraitsElEENS_6detail16IndexBoundsCheckILm4ElEESE_Lm4ESF_lEENS9_INSA_ISC_SD_Lm3ESF_lEESJ_SD_Lm4ESF_lEE,@function
_ZN2at6native12_GLOBAL__N_128upsample_bicubic2d_out_frameIN3c104HalfEfEEviT0_S5_bN5torch10headeronly6detail27GenericPackedTensorAccessorINS8_14TensorAccessorINS3_8ArrayRefIlEEKT_Lm3ENS7_16DefaultPtrTraitsElEENS_6detail16IndexBoundsCheckILm4ElEESE_Lm4ESF_lEENS9_INSA_ISC_SD_Lm3ESF_lEESJ_SD_Lm4ESF_lEE: ; @_ZN2at6native12_GLOBAL__N_128upsample_bicubic2d_out_frameIN3c104HalfEfEEviT0_S5_bN5torch10headeronly6detail27GenericPackedTensorAccessorINS8_14TensorAccessorINS3_8ArrayRefIlEEKT_Lm3ENS7_16DefaultPtrTraitsElEENS_6detail16IndexBoundsCheckILm4ElEESE_Lm4ESF_lEENS9_INSA_ISC_SD_Lm3ESF_lEESJ_SD_Lm4ESF_lEE
; %bb.0:
	s_load_dword s7, s[4:5], 0xac
	s_load_dwordx4 s[0:3], s[4:5], 0x0
	s_waitcnt lgkmcnt(0)
	s_and_b32 s7, s7, 0xffff
	s_mul_i32 s6, s6, s7
	v_add_u32_e32 v0, s6, v0
	v_cmp_gt_i32_e32 vcc, s0, v0
	s_and_saveexec_b64 s[6:7], vcc
	s_cbranch_execz .LBB5_14
; %bb.1:
	s_load_dwordx4 s[16:19], s[4:5], 0x70
	v_sub_u32_e32 v3, 0, v0
	v_max_i32_e32 v3, v0, v3
	s_load_dwordx8 s[8:15], s[4:5], 0x18
	s_mov_b64 s[20:21], -1
	s_waitcnt lgkmcnt(0)
	s_abs_i32 s0, s18
	v_cvt_f32_u32_e32 v1, s0
	s_sub_i32 s6, 0, s0
	v_xor_b32_e32 v4, s18, v0
	v_ashrrev_i32_e32 v4, 31, v4
	v_rcp_iflag_f32_e32 v1, v1
	s_cmp_lg_u32 s12, s16
	v_mul_f32_e32 v1, 0x4f7ffffe, v1
	v_cvt_u32_f32_e32 v1, v1
	v_mul_lo_u32 v2, s6, v1
	s_cselect_b64 s[6:7], -1, 0
	s_cmp_lg_u32 s14, s18
	s_cselect_b64 s[16:17], -1, 0
	v_mul_hi_u32 v2, v1, v2
	s_or_b64 s[16:17], s[16:17], s[6:7]
	s_cmp_gt_i32 s8, 0
	s_cselect_b64 s[6:7], -1, 0
	v_add_u32_e32 v1, v1, v2
	v_mul_hi_u32 v1, v3, v1
	v_mul_lo_u32 v2, v1, s0
	v_add_u32_e32 v5, 1, v1
	v_sub_u32_e32 v2, v3, v2
	v_cmp_le_u32_e32 vcc, s0, v2
	v_subrev_u32_e32 v3, s0, v2
	v_cndmask_b32_e32 v1, v1, v5, vcc
	v_cndmask_b32_e32 v2, v2, v3, vcc
	v_add_u32_e32 v3, 1, v1
	v_cmp_le_u32_e32 vcc, s0, v2
	v_cndmask_b32_e32 v1, v1, v3, vcc
	v_xor_b32_e32 v1, v1, v4
	v_sub_u32_e32 v5, v1, v4
	v_mul_lo_u32 v1, v5, s18
	s_and_b64 vcc, exec, s[16:17]
	v_sub_u32_e32 v4, v0, v1
	s_cbranch_vccz .LBB5_8
; %bb.2:
	s_andn2_b64 vcc, exec, s[6:7]
	s_cbranch_vccnz .LBB5_7
; %bb.3:
	v_cvt_f32_i32_e32 v0, v5
	s_bitcmp1_b32 s3, 0
	v_cvt_f32_i32_e32 v1, v4
	s_cselect_b64 vcc, -1, 0
	v_mul_f32_e32 v2, s1, v0
	v_add_f32_e32 v0, 0.5, v0
	v_fma_f32 v0, s1, v0, -0.5
	v_cndmask_b32_e32 v2, v0, v2, vcc
	v_floor_f32_e32 v0, v2
	v_cvt_i32_f32_e32 v36, v0
	v_mul_f32_e32 v0, s2, v1
	v_add_f32_e32 v1, 0.5, v1
	v_fma_f32 v1, s2, v1, -0.5
	v_cndmask_b32_e32 v3, v1, v0, vcc
	v_floor_f32_e32 v0, v3
	v_cvt_i32_f32_e32 v37, v0
	s_cmp_gt_i32 s10, 0
	s_cselect_b64 s[0:1], -1, 0
	s_add_i32 s9, s12, -1
	v_add_u32_e32 v0, -1, v37
	s_add_i32 s11, s14, -1
	s_load_dwordx8 s[20:27], s[4:5], 0x80
	s_load_dwordx8 s[12:19], s[4:5], 0x38
	s_load_dwordx2 s[2:3], s[4:5], 0x58
	v_min_i32_e32 v0, s11, v0
	v_max_i32_e32 v6, 0, v0
	v_ashrrev_i32_e32 v0, 31, v5
	s_waitcnt lgkmcnt(0)
	v_mul_lo_u32 v8, s25, v5
	v_mul_lo_u32 v10, s24, v0
	v_mad_u64_u32 v[0:1], s[24:25], s24, v5, 0
	v_min_i32_e32 v7, s11, v37
	v_max_i32_e32 v16, 0, v7
	v_add_u32_e32 v7, 1, v37
	v_min_i32_e32 v17, s11, v7
	v_ashrrev_i32_e32 v7, 31, v4
	v_add3_u32 v1, v1, v10, v8
	v_mul_lo_u32 v11, s27, v4
	v_mul_lo_u32 v12, s26, v7
	v_mad_u64_u32 v[7:8], s[24:25], s26, v4, 0
	v_lshlrev_b64 v[0:1], 1, v[0:1]
	v_mov_b32_e32 v10, s3
	v_add_co_u32_e32 v13, vcc, s2, v0
	v_add3_u32 v8, v8, v12, v11
	v_add_u32_e32 v9, -1, v36
	v_addc_co_u32_e32 v10, vcc, v10, v1, vcc
	v_lshlrev_b64 v[0:1], 1, v[7:8]
	v_min_i32_e32 v7, s9, v9
	v_max_i32_e32 v11, 0, v7
	v_add_co_u32_e32 v0, vcc, v13, v0
	v_mad_u64_u32 v[7:8], s[2:3], s16, v11, 0
	v_addc_co_u32_e32 v1, vcc, v10, v1, vcc
	v_mad_u64_u32 v[9:10], s[2:3], s18, v6, 0
	v_max_i32_e32 v18, 0, v17
	v_mov_b32_e32 v44, 0x40700000
	v_mad_u64_u32 v[11:12], s[2:3], s17, v11, v[8:9]
	v_mad_u64_u32 v[12:13], s[2:3], s18, v16, 0
	v_mov_b32_e32 v8, v10
	v_mad_u64_u32 v[14:15], s[2:3], s19, v6, v[8:9]
	v_mov_b32_e32 v6, v13
	v_mad_u64_u32 v[15:16], s[2:3], s19, v16, v[6:7]
	v_mad_u64_u32 v[16:17], s[2:3], s18, v18, 0
	v_mov_b32_e32 v10, v14
	v_mov_b32_e32 v13, v15
	;; [unrolled: 1-line block ×3, first 2 shown]
	v_mad_u64_u32 v[14:15], s[2:3], s19, v18, v[6:7]
	v_add_u32_e32 v6, 2, v37
	v_min_i32_e32 v6, s11, v6
	v_mov_b32_e32 v8, v11
	v_max_i32_e32 v11, 0, v6
	v_min_i32_e32 v6, s9, v36
	v_mov_b32_e32 v17, v14
	v_mad_u64_u32 v[14:15], s[2:3], s18, v11, 0
	v_max_i32_e32 v22, 0, v6
	v_mad_u64_u32 v[18:19], s[2:3], s16, v22, 0
	v_mov_b32_e32 v6, v15
	v_mad_u64_u32 v[20:21], s[2:3], s19, v11, v[6:7]
	v_mov_b32_e32 v6, v19
	v_mad_u64_u32 v[21:22], s[2:3], s17, v22, v[6:7]
	v_add_u32_e32 v6, 1, v36
	v_min_i32_e32 v6, s9, v6
	v_max_i32_e32 v11, 0, v6
	v_add_u32_e32 v6, 2, v36
	v_min_i32_e32 v6, s9, v6
	v_mad_u64_u32 v[22:23], s[2:3], s16, v11, 0
	v_max_i32_e32 v15, 0, v6
	v_mad_u64_u32 v[30:31], s[2:3], s16, v15, 0
	v_mov_b32_e32 v6, v23
	v_mad_u64_u32 v[23:24], s[2:3], s17, v11, v[6:7]
	v_mov_b32_e32 v6, v31
	;; [unrolled: 2-line block ×3, first 2 shown]
	v_mov_b32_e32 v19, v21
	v_lshlrev_b64 v[20:21], 1, v[7:8]
	v_lshlrev_b64 v[32:33], 1, v[9:10]
	;; [unrolled: 1-line block ×3, first 2 shown]
	v_add_co_u32_e32 v6, vcc, v20, v32
	v_addc_co_u32_e32 v7, vcc, v21, v33, vcc
	v_lshlrev_b64 v[38:39], 1, v[16:17]
	v_add_co_u32_e32 v8, vcc, v34, v20
	v_addc_co_u32_e32 v9, vcc, v35, v21, vcc
	v_lshlrev_b64 v[40:41], 1, v[14:15]
	v_add_co_u32_e32 v10, vcc, v20, v38
	v_addc_co_u32_e32 v11, vcc, v21, v39, vcc
	v_add_co_u32_e32 v12, vcc, v20, v40
	v_addc_co_u32_e32 v13, vcc, v21, v41, vcc
	v_lshlrev_b64 v[20:21], 1, v[18:19]
	v_lshlrev_b64 v[28:29], 1, v[22:23]
	v_add_co_u32_e32 v14, vcc, v20, v32
	v_addc_co_u32_e32 v15, vcc, v21, v33, vcc
	v_add_co_u32_e32 v16, vcc, v20, v34
	v_addc_co_u32_e32 v17, vcc, v21, v35, vcc
	;; [unrolled: 2-line block ×5, first 2 shown]
	v_mov_b32_e32 v31, v24
	v_add_co_u32_e32 v24, vcc, v34, v28
	v_addc_co_u32_e32 v25, vcc, v35, v29, vcc
	v_add_co_u32_e32 v26, vcc, v28, v38
	v_addc_co_u32_e32 v27, vcc, v29, v39, vcc
	v_add_co_u32_e32 v28, vcc, v40, v28
	v_lshlrev_b64 v[42:43], 1, v[30:31]
	v_addc_co_u32_e32 v29, vcc, v41, v29, vcc
	v_add_co_u32_e32 v30, vcc, v32, v42
	v_addc_co_u32_e32 v31, vcc, v33, v43, vcc
	v_add_co_u32_e32 v32, vcc, v34, v42
	;; [unrolled: 2-line block ×3, first 2 shown]
	v_addc_co_u32_e32 v35, vcc, v43, v39, vcc
	v_cvt_f32_i32_e32 v39, v37
	v_cvt_f32_i32_e32 v38, v36
	v_add_co_u32_e32 v36, vcc, v42, v40
	v_sub_f32_e32 v3, v3, v39
	v_sub_f32_e32 v2, v2, v38
	v_add_f32_e32 v39, 1.0, v3
	v_mov_b32_e32 v38, 0x40700000
	v_fmac_f32_e32 v38, 0xbf400000, v39
	v_mov_b32_e32 v42, 0xc0c00000
	v_addc_co_u32_e32 v37, vcc, v43, v41, vcc
	v_fma_f32 v40, v39, v38, v42
	v_mov_b32_e32 v38, 0x40400000
	v_sub_f32_e32 v43, 1.0, v3
	v_fma_f32 v39, v39, v40, v38
	v_add_f32_e32 v40, 1.0, v43
	v_mov_b32_e32 v41, 0x40700000
	v_fmac_f32_e32 v41, 0xbf400000, v40
	v_fma_f32 v41, v40, v41, v42
	v_fma_f32 v40, v40, v41, v38
	v_add_f32_e32 v41, 1.0, v2
	v_fmac_f32_e32 v44, 0xbf400000, v41
	v_fma_f32 v44, v41, v44, v42
	v_sub_f32_e32 v45, 1.0, v2
	v_fma_f32 v41, v41, v44, v38
	v_mov_b32_e32 v44, 0x40700000
	v_add_f32_e32 v46, 1.0, v45
	v_fmac_f32_e32 v44, 0xbf400000, v46
	v_fmac_f32_e32 v42, v46, v44
	;; [unrolled: 1-line block ×3, first 2 shown]
	v_mov_b32_e32 v42, 0xc0100000
	v_fmac_f32_e32 v42, 0x3fa00000, v3
	v_mul_f32_e32 v42, v3, v42
	v_fma_f32 v42, v3, v42, 1.0
	v_mov_b32_e32 v3, 0xc0100000
	v_fmac_f32_e32 v3, 0x3fa00000, v43
	v_mul_f32_e32 v3, v43, v3
	v_fma_f32 v43, v43, v3, 1.0
	v_mov_b32_e32 v3, 0xc0100000
	v_fmac_f32_e32 v3, 0x3fa00000, v2
	v_mul_f32_e32 v3, v2, v3
	s_load_dwordx2 s[2:3], s[4:5], 0x10
	v_fma_f32 v44, v2, v3, 1.0
	v_mov_b32_e32 v2, 0xc0100000
	v_fmac_f32_e32 v2, 0x3fa00000, v45
	v_mul_f32_e32 v2, v45, v2
	v_fma_f32 v45, v45, v2, 1.0
	s_mov_b32 s9, 0
	s_lshl_b64 s[16:17], s[20:21], 1
	s_lshl_b64 s[18:19], s[22:23], 1
	;; [unrolled: 1-line block ×4, first 2 shown]
	s_branch .LBB5_5
.LBB5_4:                                ;   in Loop: Header=BB5_5 Depth=1
	s_add_i32 s9, s9, 1
	s_add_u32 s2, s2, s12
	v_mov_b32_e32 v2, s17
	s_addc_u32 s3, s3, s13
	v_add_co_u32_e32 v0, vcc, s16, v0
	s_cmp_eq_u32 s9, s8
	v_addc_co_u32_e32 v1, vcc, v1, v2, vcc
	s_cbranch_scc1 .LBB5_7
.LBB5_5:                                ; =>This Loop Header: Depth=1
                                        ;     Child Loop BB5_6 Depth 2
	v_mov_b32_e32 v3, v1
	s_andn2_b64 vcc, exec, s[0:1]
	s_waitcnt lgkmcnt(0)
	s_mov_b64 s[20:21], s[2:3]
	v_mov_b32_e32 v2, v0
	s_mov_b32 s11, s10
	s_cbranch_vccnz .LBB5_4
.LBB5_6:                                ;   Parent Loop BB5_5 Depth=1
                                        ; =>  This Inner Loop Header: Depth=2
	v_add_co_u32_e32 v48, vcc, s20, v6
	v_mov_b32_e32 v47, s21
	v_addc_co_u32_e32 v49, vcc, v47, v7, vcc
	global_load_ushort v46, v[48:49], off
	v_add_co_u32_e32 v48, vcc, s20, v8
	v_addc_co_u32_e32 v49, vcc, v47, v9, vcc
	global_load_ushort v50, v[48:49], off
	v_add_co_u32_e32 v48, vcc, s20, v10
	;; [unrolled: 3-line block ×3, first 2 shown]
	v_addc_co_u32_e32 v49, vcc, v47, v13, vcc
	global_load_ushort v48, v[48:49], off
	s_add_i32 s11, s11, -1
	s_waitcnt vmcnt(2)
	v_cvt_f32_f16_e32 v49, v50
	v_mul_f32_e32 v49, v42, v49
	v_fma_mix_f32 v46, v39, v46, v49 op_sel_hi:[0,1,0]
	s_waitcnt vmcnt(1)
	v_fma_mix_f32 v46, v43, v51, v46 op_sel_hi:[0,1,0]
	s_waitcnt vmcnt(0)
	v_fma_mix_f32 v46, v40, v48, v46 op_sel_hi:[0,1,0]
	v_add_co_u32_e32 v48, vcc, s20, v14
	v_addc_co_u32_e32 v49, vcc, v47, v15, vcc
	global_load_ushort v50, v[48:49], off
	v_add_co_u32_e32 v48, vcc, s20, v16
	v_addc_co_u32_e32 v49, vcc, v47, v17, vcc
	global_load_ushort v51, v[48:49], off
	;; [unrolled: 3-line block ×4, first 2 shown]
	s_waitcnt vmcnt(2)
	v_cvt_f32_f16_e32 v49, v51
	v_mul_f32_e32 v49, v42, v49
	v_fma_mix_f32 v49, v39, v50, v49 op_sel_hi:[0,1,0]
	s_waitcnt vmcnt(1)
	v_fma_mix_f32 v49, v43, v52, v49 op_sel_hi:[0,1,0]
	s_waitcnt vmcnt(0)
	v_fma_mix_f32 v48, v40, v48, v49 op_sel_hi:[0,1,0]
	v_add_co_u32_e32 v49, vcc, s20, v22
	v_addc_co_u32_e32 v50, vcc, v47, v23, vcc
	global_load_ushort v51, v[49:50], off
	v_add_co_u32_e32 v49, vcc, s20, v24
	v_addc_co_u32_e32 v50, vcc, v47, v25, vcc
	global_load_ushort v52, v[49:50], off
	;; [unrolled: 3-line block ×4, first 2 shown]
	v_mul_f32_e32 v48, v44, v48
	v_fmac_f32_e32 v48, v41, v46
	s_waitcnt vmcnt(2)
	v_cvt_f32_f16_e32 v50, v52
	v_mul_f32_e32 v50, v42, v50
	v_fma_mix_f32 v50, v39, v51, v50 op_sel_hi:[0,1,0]
	s_waitcnt vmcnt(1)
	v_fma_mix_f32 v50, v43, v53, v50 op_sel_hi:[0,1,0]
	s_waitcnt vmcnt(0)
	v_fma_mix_f32 v51, v40, v49, v50 op_sel_hi:[0,1,0]
	v_add_co_u32_e32 v49, vcc, s20, v30
	v_addc_co_u32_e32 v50, vcc, v47, v31, vcc
	global_load_ushort v52, v[49:50], off
	v_add_co_u32_e32 v49, vcc, s20, v32
	v_addc_co_u32_e32 v50, vcc, v47, v33, vcc
	global_load_ushort v53, v[49:50], off
	;; [unrolled: 3-line block ×4, first 2 shown]
	v_fmac_f32_e32 v48, v45, v51
	s_add_u32 s20, s20, s14
	s_addc_u32 s21, s21, s15
	s_cmp_eq_u32 s11, 0
	s_waitcnt vmcnt(2)
	v_cvt_f32_f16_e32 v49, v53
	v_mul_f32_e32 v49, v42, v49
	v_fma_mix_f32 v49, v39, v52, v49 op_sel_hi:[0,1,0]
	s_waitcnt vmcnt(1)
	v_fma_mix_f32 v49, v43, v54, v49 op_sel_hi:[0,1,0]
	s_waitcnt vmcnt(0)
	v_fma_mix_f32 v47, v40, v47, v49 op_sel_hi:[0,1,0]
	v_fma_mixlo_f16 v46, v38, v47, v48
	global_store_short v[2:3], v46, off
	v_add_co_u32_e32 v2, vcc, s18, v2
	v_mov_b32_e32 v46, s19
	v_addc_co_u32_e32 v3, vcc, v3, v46, vcc
	s_cbranch_scc0 .LBB5_6
	s_branch .LBB5_4
.LBB5_7:
	s_mov_b64 s[20:21], 0
.LBB5_8:
	s_andn2_b64 vcc, exec, s[20:21]
	s_cbranch_vccnz .LBB5_14
; %bb.9:
	s_andn2_b64 vcc, exec, s[6:7]
	s_cbranch_vccnz .LBB5_14
; %bb.10:
	s_load_dwordx8 s[12:19], s[4:5], 0x38
	v_ashrrev_i32_e32 v6, 31, v5
	v_ashrrev_i32_e32 v8, 31, v4
	s_cmp_gt_i32 s10, 0
	s_cselect_b64 s[24:25], -1, 0
	s_waitcnt lgkmcnt(0)
	v_mul_lo_u32 v2, s17, v5
	v_mul_lo_u32 v3, s16, v6
	v_mad_u64_u32 v[0:1], s[0:1], s16, v5, 0
	s_load_dwordx2 s[0:1], s[4:5], 0x10
	s_load_dwordx2 s[2:3], s[4:5], 0x58
	v_add3_u32 v1, v1, v3, v2
	v_mul_lo_u32 v9, s19, v4
	v_mul_lo_u32 v10, s18, v8
	v_mad_u64_u32 v[2:3], s[6:7], s18, v4, 0
	s_load_dwordx8 s[16:23], s[4:5], 0x80
	v_lshlrev_b64 v[0:1], 1, v[0:1]
	s_waitcnt lgkmcnt(0)
	v_mov_b32_e32 v7, s1
	v_add_co_u32_e32 v11, vcc, s0, v0
	v_add3_u32 v3, v3, v10, v9
	v_addc_co_u32_e32 v7, vcc, v7, v1, vcc
	v_lshlrev_b64 v[0:1], 1, v[2:3]
	v_mul_lo_u32 v9, s21, v5
	v_mul_lo_u32 v6, s20, v6
	v_mad_u64_u32 v[2:3], s[0:1], s20, v5, 0
	v_add_co_u32_e32 v0, vcc, v11, v0
	v_addc_co_u32_e32 v1, vcc, v7, v1, vcc
	v_mul_lo_u32 v7, s23, v4
	v_mul_lo_u32 v8, s22, v8
	v_mad_u64_u32 v[4:5], s[0:1], s22, v4, 0
	v_add3_u32 v3, v3, v6, v9
	v_lshlrev_b64 v[2:3], 1, v[2:3]
	v_mov_b32_e32 v6, s3
	v_add_co_u32_e32 v9, vcc, s2, v2
	v_add3_u32 v5, v5, v8, v7
	v_addc_co_u32_e32 v6, vcc, v6, v3, vcc
	v_lshlrev_b64 v[2:3], 1, v[4:5]
	v_cndmask_b32_e64 v4, 0, 1, s[24:25]
	v_add_co_u32_e32 v2, vcc, v9, v2
	s_mov_b32 s9, 0
	v_addc_co_u32_e32 v3, vcc, v6, v3, vcc
	s_lshl_b64 s[2:3], s[16:17], 1
	s_lshl_b64 s[4:5], s[18:19], 1
	;; [unrolled: 1-line block ×4, first 2 shown]
	v_cmp_ne_u32_e64 s[0:1], 1, v4
	s_branch .LBB5_12
.LBB5_11:                               ;   in Loop: Header=BB5_12 Depth=1
	v_mov_b32_e32 v4, s3
	v_add_co_u32_e32 v2, vcc, s2, v2
	v_addc_co_u32_e32 v3, vcc, v3, v4, vcc
	s_add_i32 s9, s9, 1
	v_mov_b32_e32 v4, s7
	v_add_co_u32_e32 v0, vcc, s6, v0
	s_cmp_eq_u32 s9, s8
	v_addc_co_u32_e32 v1, vcc, v1, v4, vcc
	s_cbranch_scc1 .LBB5_14
.LBB5_12:                               ; =>This Loop Header: Depth=1
                                        ;     Child Loop BB5_13 Depth 2
	v_mov_b32_e32 v5, v1
	v_mov_b32_e32 v7, v3
	s_and_b64 vcc, exec, s[0:1]
	v_mov_b32_e32 v4, v0
	v_mov_b32_e32 v6, v2
	s_mov_b32 s11, s10
	s_cbranch_vccnz .LBB5_11
.LBB5_13:                               ;   Parent Loop BB5_12 Depth=1
                                        ; =>  This Inner Loop Header: Depth=2
	global_load_ushort v8, v[4:5], off
	v_mov_b32_e32 v10, s13
	v_add_co_u32_e32 v4, vcc, s12, v4
	v_addc_co_u32_e32 v5, vcc, v5, v10, vcc
	s_add_i32 s11, s11, -1
	v_mov_b32_e32 v9, s5
	s_cmp_eq_u32 s11, 0
	s_waitcnt vmcnt(0)
	global_store_short v[6:7], v8, off
	v_add_co_u32_e32 v6, vcc, s4, v6
	v_addc_co_u32_e32 v7, vcc, v7, v9, vcc
	s_cbranch_scc0 .LBB5_13
	s_branch .LBB5_11
.LBB5_14:
	s_endpgm
	.section	.rodata,"a",@progbits
	.p2align	6, 0x0
	.amdhsa_kernel _ZN2at6native12_GLOBAL__N_128upsample_bicubic2d_out_frameIN3c104HalfEfEEviT0_S5_bN5torch10headeronly6detail27GenericPackedTensorAccessorINS8_14TensorAccessorINS3_8ArrayRefIlEEKT_Lm3ENS7_16DefaultPtrTraitsElEENS_6detail16IndexBoundsCheckILm4ElEESE_Lm4ESF_lEENS9_INSA_ISC_SD_Lm3ESF_lEESJ_SD_Lm4ESF_lEE
		.amdhsa_group_segment_fixed_size 0
		.amdhsa_private_segment_fixed_size 0
		.amdhsa_kernarg_size 416
		.amdhsa_user_sgpr_count 6
		.amdhsa_user_sgpr_private_segment_buffer 1
		.amdhsa_user_sgpr_dispatch_ptr 0
		.amdhsa_user_sgpr_queue_ptr 0
		.amdhsa_user_sgpr_kernarg_segment_ptr 1
		.amdhsa_user_sgpr_dispatch_id 0
		.amdhsa_user_sgpr_flat_scratch_init 0
		.amdhsa_user_sgpr_private_segment_size 0
		.amdhsa_uses_dynamic_stack 0
		.amdhsa_system_sgpr_private_segment_wavefront_offset 0
		.amdhsa_system_sgpr_workgroup_id_x 1
		.amdhsa_system_sgpr_workgroup_id_y 0
		.amdhsa_system_sgpr_workgroup_id_z 0
		.amdhsa_system_sgpr_workgroup_info 0
		.amdhsa_system_vgpr_workitem_id 0
		.amdhsa_next_free_vgpr 55
		.amdhsa_next_free_sgpr 28
		.amdhsa_reserve_vcc 1
		.amdhsa_reserve_flat_scratch 0
		.amdhsa_float_round_mode_32 0
		.amdhsa_float_round_mode_16_64 0
		.amdhsa_float_denorm_mode_32 3
		.amdhsa_float_denorm_mode_16_64 3
		.amdhsa_dx10_clamp 1
		.amdhsa_ieee_mode 1
		.amdhsa_fp16_overflow 0
		.amdhsa_exception_fp_ieee_invalid_op 0
		.amdhsa_exception_fp_denorm_src 0
		.amdhsa_exception_fp_ieee_div_zero 0
		.amdhsa_exception_fp_ieee_overflow 0
		.amdhsa_exception_fp_ieee_underflow 0
		.amdhsa_exception_fp_ieee_inexact 0
		.amdhsa_exception_int_div_zero 0
	.end_amdhsa_kernel
	.section	.text._ZN2at6native12_GLOBAL__N_128upsample_bicubic2d_out_frameIN3c104HalfEfEEviT0_S5_bN5torch10headeronly6detail27GenericPackedTensorAccessorINS8_14TensorAccessorINS3_8ArrayRefIlEEKT_Lm3ENS7_16DefaultPtrTraitsElEENS_6detail16IndexBoundsCheckILm4ElEESE_Lm4ESF_lEENS9_INSA_ISC_SD_Lm3ESF_lEESJ_SD_Lm4ESF_lEE,"axG",@progbits,_ZN2at6native12_GLOBAL__N_128upsample_bicubic2d_out_frameIN3c104HalfEfEEviT0_S5_bN5torch10headeronly6detail27GenericPackedTensorAccessorINS8_14TensorAccessorINS3_8ArrayRefIlEEKT_Lm3ENS7_16DefaultPtrTraitsElEENS_6detail16IndexBoundsCheckILm4ElEESE_Lm4ESF_lEENS9_INSA_ISC_SD_Lm3ESF_lEESJ_SD_Lm4ESF_lEE,comdat
.Lfunc_end5:
	.size	_ZN2at6native12_GLOBAL__N_128upsample_bicubic2d_out_frameIN3c104HalfEfEEviT0_S5_bN5torch10headeronly6detail27GenericPackedTensorAccessorINS8_14TensorAccessorINS3_8ArrayRefIlEEKT_Lm3ENS7_16DefaultPtrTraitsElEENS_6detail16IndexBoundsCheckILm4ElEESE_Lm4ESF_lEENS9_INSA_ISC_SD_Lm3ESF_lEESJ_SD_Lm4ESF_lEE, .Lfunc_end5-_ZN2at6native12_GLOBAL__N_128upsample_bicubic2d_out_frameIN3c104HalfEfEEviT0_S5_bN5torch10headeronly6detail27GenericPackedTensorAccessorINS8_14TensorAccessorINS3_8ArrayRefIlEEKT_Lm3ENS7_16DefaultPtrTraitsElEENS_6detail16IndexBoundsCheckILm4ElEESE_Lm4ESF_lEENS9_INSA_ISC_SD_Lm3ESF_lEESJ_SD_Lm4ESF_lEE
                                        ; -- End function
	.set _ZN2at6native12_GLOBAL__N_128upsample_bicubic2d_out_frameIN3c104HalfEfEEviT0_S5_bN5torch10headeronly6detail27GenericPackedTensorAccessorINS8_14TensorAccessorINS3_8ArrayRefIlEEKT_Lm3ENS7_16DefaultPtrTraitsElEENS_6detail16IndexBoundsCheckILm4ElEESE_Lm4ESF_lEENS9_INSA_ISC_SD_Lm3ESF_lEESJ_SD_Lm4ESF_lEE.num_vgpr, 55
	.set _ZN2at6native12_GLOBAL__N_128upsample_bicubic2d_out_frameIN3c104HalfEfEEviT0_S5_bN5torch10headeronly6detail27GenericPackedTensorAccessorINS8_14TensorAccessorINS3_8ArrayRefIlEEKT_Lm3ENS7_16DefaultPtrTraitsElEENS_6detail16IndexBoundsCheckILm4ElEESE_Lm4ESF_lEENS9_INSA_ISC_SD_Lm3ESF_lEESJ_SD_Lm4ESF_lEE.num_agpr, 0
	.set _ZN2at6native12_GLOBAL__N_128upsample_bicubic2d_out_frameIN3c104HalfEfEEviT0_S5_bN5torch10headeronly6detail27GenericPackedTensorAccessorINS8_14TensorAccessorINS3_8ArrayRefIlEEKT_Lm3ENS7_16DefaultPtrTraitsElEENS_6detail16IndexBoundsCheckILm4ElEESE_Lm4ESF_lEENS9_INSA_ISC_SD_Lm3ESF_lEESJ_SD_Lm4ESF_lEE.numbered_sgpr, 28
	.set _ZN2at6native12_GLOBAL__N_128upsample_bicubic2d_out_frameIN3c104HalfEfEEviT0_S5_bN5torch10headeronly6detail27GenericPackedTensorAccessorINS8_14TensorAccessorINS3_8ArrayRefIlEEKT_Lm3ENS7_16DefaultPtrTraitsElEENS_6detail16IndexBoundsCheckILm4ElEESE_Lm4ESF_lEENS9_INSA_ISC_SD_Lm3ESF_lEESJ_SD_Lm4ESF_lEE.num_named_barrier, 0
	.set _ZN2at6native12_GLOBAL__N_128upsample_bicubic2d_out_frameIN3c104HalfEfEEviT0_S5_bN5torch10headeronly6detail27GenericPackedTensorAccessorINS8_14TensorAccessorINS3_8ArrayRefIlEEKT_Lm3ENS7_16DefaultPtrTraitsElEENS_6detail16IndexBoundsCheckILm4ElEESE_Lm4ESF_lEENS9_INSA_ISC_SD_Lm3ESF_lEESJ_SD_Lm4ESF_lEE.private_seg_size, 0
	.set _ZN2at6native12_GLOBAL__N_128upsample_bicubic2d_out_frameIN3c104HalfEfEEviT0_S5_bN5torch10headeronly6detail27GenericPackedTensorAccessorINS8_14TensorAccessorINS3_8ArrayRefIlEEKT_Lm3ENS7_16DefaultPtrTraitsElEENS_6detail16IndexBoundsCheckILm4ElEESE_Lm4ESF_lEENS9_INSA_ISC_SD_Lm3ESF_lEESJ_SD_Lm4ESF_lEE.uses_vcc, 1
	.set _ZN2at6native12_GLOBAL__N_128upsample_bicubic2d_out_frameIN3c104HalfEfEEviT0_S5_bN5torch10headeronly6detail27GenericPackedTensorAccessorINS8_14TensorAccessorINS3_8ArrayRefIlEEKT_Lm3ENS7_16DefaultPtrTraitsElEENS_6detail16IndexBoundsCheckILm4ElEESE_Lm4ESF_lEENS9_INSA_ISC_SD_Lm3ESF_lEESJ_SD_Lm4ESF_lEE.uses_flat_scratch, 0
	.set _ZN2at6native12_GLOBAL__N_128upsample_bicubic2d_out_frameIN3c104HalfEfEEviT0_S5_bN5torch10headeronly6detail27GenericPackedTensorAccessorINS8_14TensorAccessorINS3_8ArrayRefIlEEKT_Lm3ENS7_16DefaultPtrTraitsElEENS_6detail16IndexBoundsCheckILm4ElEESE_Lm4ESF_lEENS9_INSA_ISC_SD_Lm3ESF_lEESJ_SD_Lm4ESF_lEE.has_dyn_sized_stack, 0
	.set _ZN2at6native12_GLOBAL__N_128upsample_bicubic2d_out_frameIN3c104HalfEfEEviT0_S5_bN5torch10headeronly6detail27GenericPackedTensorAccessorINS8_14TensorAccessorINS3_8ArrayRefIlEEKT_Lm3ENS7_16DefaultPtrTraitsElEENS_6detail16IndexBoundsCheckILm4ElEESE_Lm4ESF_lEENS9_INSA_ISC_SD_Lm3ESF_lEESJ_SD_Lm4ESF_lEE.has_recursion, 0
	.set _ZN2at6native12_GLOBAL__N_128upsample_bicubic2d_out_frameIN3c104HalfEfEEviT0_S5_bN5torch10headeronly6detail27GenericPackedTensorAccessorINS8_14TensorAccessorINS3_8ArrayRefIlEEKT_Lm3ENS7_16DefaultPtrTraitsElEENS_6detail16IndexBoundsCheckILm4ElEESE_Lm4ESF_lEENS9_INSA_ISC_SD_Lm3ESF_lEESJ_SD_Lm4ESF_lEE.has_indirect_call, 0
	.section	.AMDGPU.csdata,"",@progbits
; Kernel info:
; codeLenInByte = 2264
; TotalNumSgprs: 32
; NumVgprs: 55
; ScratchSize: 0
; MemoryBound: 0
; FloatMode: 240
; IeeeMode: 1
; LDSByteSize: 0 bytes/workgroup (compile time only)
; SGPRBlocks: 3
; VGPRBlocks: 13
; NumSGPRsForWavesPerEU: 32
; NumVGPRsForWavesPerEU: 55
; Occupancy: 4
; WaveLimiterHint : 1
; COMPUTE_PGM_RSRC2:SCRATCH_EN: 0
; COMPUTE_PGM_RSRC2:USER_SGPR: 6
; COMPUTE_PGM_RSRC2:TRAP_HANDLER: 0
; COMPUTE_PGM_RSRC2:TGID_X_EN: 1
; COMPUTE_PGM_RSRC2:TGID_Y_EN: 0
; COMPUTE_PGM_RSRC2:TGID_Z_EN: 0
; COMPUTE_PGM_RSRC2:TIDIG_COMP_CNT: 0
	.section	.text._ZN2at6native12_GLOBAL__N_137upsample_bicubic2d_out_frame_parallelIN3c108BFloat16EfEEviT0_S5_bN5torch10headeronly6detail27GenericPackedTensorAccessorINS8_14TensorAccessorINS3_8ArrayRefIlEEKT_Lm3ENS7_16DefaultPtrTraitsElEENS_6detail16IndexBoundsCheckILm4ElEESE_Lm4ESF_lEENS9_INSA_ISC_SD_Lm3ESF_lEESJ_SD_Lm4ESF_lEE,"axG",@progbits,_ZN2at6native12_GLOBAL__N_137upsample_bicubic2d_out_frame_parallelIN3c108BFloat16EfEEviT0_S5_bN5torch10headeronly6detail27GenericPackedTensorAccessorINS8_14TensorAccessorINS3_8ArrayRefIlEEKT_Lm3ENS7_16DefaultPtrTraitsElEENS_6detail16IndexBoundsCheckILm4ElEESE_Lm4ESF_lEENS9_INSA_ISC_SD_Lm3ESF_lEESJ_SD_Lm4ESF_lEE,comdat
	.globl	_ZN2at6native12_GLOBAL__N_137upsample_bicubic2d_out_frame_parallelIN3c108BFloat16EfEEviT0_S5_bN5torch10headeronly6detail27GenericPackedTensorAccessorINS8_14TensorAccessorINS3_8ArrayRefIlEEKT_Lm3ENS7_16DefaultPtrTraitsElEENS_6detail16IndexBoundsCheckILm4ElEESE_Lm4ESF_lEENS9_INSA_ISC_SD_Lm3ESF_lEESJ_SD_Lm4ESF_lEE ; -- Begin function _ZN2at6native12_GLOBAL__N_137upsample_bicubic2d_out_frame_parallelIN3c108BFloat16EfEEviT0_S5_bN5torch10headeronly6detail27GenericPackedTensorAccessorINS8_14TensorAccessorINS3_8ArrayRefIlEEKT_Lm3ENS7_16DefaultPtrTraitsElEENS_6detail16IndexBoundsCheckILm4ElEESE_Lm4ESF_lEENS9_INSA_ISC_SD_Lm3ESF_lEESJ_SD_Lm4ESF_lEE
	.p2align	8
	.type	_ZN2at6native12_GLOBAL__N_137upsample_bicubic2d_out_frame_parallelIN3c108BFloat16EfEEviT0_S5_bN5torch10headeronly6detail27GenericPackedTensorAccessorINS8_14TensorAccessorINS3_8ArrayRefIlEEKT_Lm3ENS7_16DefaultPtrTraitsElEENS_6detail16IndexBoundsCheckILm4ElEESE_Lm4ESF_lEENS9_INSA_ISC_SD_Lm3ESF_lEESJ_SD_Lm4ESF_lEE,@function
_ZN2at6native12_GLOBAL__N_137upsample_bicubic2d_out_frame_parallelIN3c108BFloat16EfEEviT0_S5_bN5torch10headeronly6detail27GenericPackedTensorAccessorINS8_14TensorAccessorINS3_8ArrayRefIlEEKT_Lm3ENS7_16DefaultPtrTraitsElEENS_6detail16IndexBoundsCheckILm4ElEESE_Lm4ESF_lEENS9_INSA_ISC_SD_Lm3ESF_lEESJ_SD_Lm4ESF_lEE: ; @_ZN2at6native12_GLOBAL__N_137upsample_bicubic2d_out_frame_parallelIN3c108BFloat16EfEEviT0_S5_bN5torch10headeronly6detail27GenericPackedTensorAccessorINS8_14TensorAccessorINS3_8ArrayRefIlEEKT_Lm3ENS7_16DefaultPtrTraitsElEENS_6detail16IndexBoundsCheckILm4ElEESE_Lm4ESF_lEENS9_INSA_ISC_SD_Lm3ESF_lEESJ_SD_Lm4ESF_lEE
; %bb.0:
	s_load_dword s0, s[4:5], 0xac
	s_load_dwordx4 s[8:11], s[4:5], 0x0
	s_add_u32 s28, s4, 0xa0
	s_addc_u32 s29, s5, 0
	s_waitcnt lgkmcnt(0)
	s_and_b32 s0, s0, 0xffff
	s_mul_i32 s6, s6, s0
	v_add_u32_e32 v0, s6, v0
	v_cmp_gt_i32_e32 vcc, s8, v0
	s_and_saveexec_b64 s[0:1], vcc
	s_cbranch_execz .LBB6_10
; %bb.1:
	s_load_dwordx4 s[0:3], s[4:5], 0x70
	v_sub_u32_e32 v2, 0, v0
	v_max_i32_e32 v2, v0, v2
	s_waitcnt lgkmcnt(0)
	s_load_dword s1, s[4:5], 0x18
	s_load_dwordx4 s[24:27], s[4:5], 0x20
	s_load_dword s3, s[4:5], 0x30
	s_mov_b64 s[12:13], -1
	s_abs_i32 s8, s2
	v_cvt_f32_u32_e32 v1, s8
	s_sub_i32 s6, 0, s8
	v_xor_b32_e32 v4, s2, v0
	v_ashrrev_i32_e32 v4, 31, v4
	v_rcp_iflag_f32_e32 v1, v1
	s_waitcnt lgkmcnt(0)
	s_cmp_lg_u32 s26, s0
	v_mul_f32_e32 v1, 0x4f7ffffe, v1
	v_cvt_u32_f32_e32 v1, v1
	v_mul_lo_u32 v3, s6, v1
	s_mul_i32 s6, s24, s1
	s_cselect_b64 s[0:1], -1, 0
	s_cmp_lg_u32 s3, s2
	v_mul_hi_u32 v3, v1, v3
	s_cselect_b64 s[14:15], -1, 0
	s_or_b64 s[0:1], s[14:15], s[0:1]
	s_cmp_lt_i32 s7, s6
	v_add_u32_e32 v1, v1, v3
	v_mul_hi_u32 v1, v2, v1
	s_cselect_b64 s[14:15], -1, 0
	v_mul_lo_u32 v3, v1, s8
	v_add_u32_e32 v5, 1, v1
	v_sub_u32_e32 v2, v2, v3
	v_cmp_le_u32_e32 vcc, s8, v2
	v_subrev_u32_e32 v3, s8, v2
	v_cndmask_b32_e32 v1, v1, v5, vcc
	v_cndmask_b32_e32 v2, v2, v3, vcc
	v_add_u32_e32 v3, 1, v1
	v_cmp_le_u32_e32 vcc, s8, v2
	v_cndmask_b32_e32 v1, v1, v3, vcc
	v_xor_b32_e32 v1, v1, v4
	v_sub_u32_e32 v23, v1, v4
	v_mul_lo_u32 v1, v23, s2
	v_cndmask_b32_e64 v2, 0, 1, s[14:15]
	s_and_b64 vcc, exec, s[0:1]
	v_cmp_ne_u32_e64 s[0:1], 1, v2
	v_sub_u32_e32 v22, v0, v1
	s_cbranch_vccz .LBB6_6
; %bb.2:
	s_and_b64 vcc, exec, s[0:1]
	s_cbranch_vccnz .LBB6_5
; %bb.3:
	v_cvt_f32_i32_e32 v0, v23
	v_cvt_f32_i32_e32 v1, v22
	s_bitcmp1_b32 s11, 0
	s_cselect_b64 vcc, -1, 0
	v_mul_f32_e32 v2, s9, v0
	v_add_f32_e32 v0, 0.5, v0
	v_fma_f32 v0, s9, v0, -0.5
	v_cndmask_b32_e32 v6, v0, v2, vcc
	v_mul_f32_e32 v0, s10, v1
	v_add_f32_e32 v1, 0.5, v1
	v_fma_f32 v1, s10, v1, -0.5
	v_cndmask_b32_e32 v13, v1, v0, vcc
	v_floor_f32_e32 v0, v13
	v_cvt_i32_f32_e32 v10, v0
	s_load_dwordx8 s[8:15], s[4:5], 0x38
	v_floor_f32_e32 v0, v6
	v_cvt_i32_f32_e32 v1, v0
	v_add_u32_e32 v0, -1, v10
	s_add_i32 s16, s3, -1
	v_min_i32_e32 v0, s16, v0
	v_max_i32_e32 v4, 0, v0
	s_waitcnt lgkmcnt(0)
	v_mad_u64_u32 v[2:3], s[2:3], s14, v4, 0
	v_cvt_f32_i32_e32 v7, v1
	v_mov_b32_e32 v24, 0x40400000
	v_mov_b32_e32 v0, v3
	v_mad_u64_u32 v[3:4], s[2:3], s15, v4, v[0:1]
	v_min_i32_e32 v0, s16, v10
	v_max_i32_e32 v8, 0, v0
	v_mad_u64_u32 v[4:5], s[2:3], s14, v8, 0
	v_sub_f32_e32 v0, v6, v7
	v_sub_f32_e32 v36, 1.0, v0
	v_mad_u64_u32 v[5:6], s[2:3], s15, v8, v[5:6]
	v_add_u32_e32 v6, 1, v10
	v_add_u32_e32 v8, 2, v10
	v_min_i32_e32 v6, s16, v6
	v_min_i32_e32 v8, s16, v8
	v_max_i32_e32 v11, 0, v6
	v_max_i32_e32 v14, 0, v8
	v_mad_u64_u32 v[6:7], s[2:3], s14, v11, 0
	v_mad_u64_u32 v[8:9], s[2:3], s14, v14, 0
	s_load_dwordx8 s[16:23], s[4:5], 0x80
	s_add_i32 s14, s26, -1
	v_mad_u64_u32 v[11:12], s[2:3], s15, v11, v[7:8]
	v_cvt_f32_i32_e32 v12, v10
	v_mov_b32_e32 v7, v9
	v_mad_u64_u32 v[9:10], s[2:3], s15, v14, v[7:8]
	v_sub_f32_e32 v10, v13, v12
	v_sub_f32_e32 v31, 1.0, v10
	v_add_f32_e32 v13, 1.0, v31
	v_mov_b32_e32 v14, 0x40700000
	v_mov_b32_e32 v12, 0xc0c00000
	v_fmac_f32_e32 v14, 0xbf400000, v13
	v_fma_f32 v14, v13, v14, v12
	v_fma_f32 v25, v13, v14, v24
	v_add_f32_e32 v13, 1.0, v0
	v_mov_b32_e32 v14, 0x40700000
	v_fmac_f32_e32 v14, 0xbf400000, v13
	v_fma_f32 v14, v13, v14, v12
	v_mov_b32_e32 v7, v11
	v_add_f32_e32 v11, 1.0, v10
	v_fma_f32 v26, v13, v14, v24
	v_mov_b32_e32 v13, 0x40700000
	v_fmac_f32_e32 v13, 0xbf400000, v11
	v_fma_f32 v13, v11, v13, v12
	v_ashrrev_i32_e32 v14, 31, v23
	v_fma_f32 v27, v13, v11, v24
	v_mov_b32_e32 v11, 0x40700000
	v_add_f32_e32 v13, 1.0, v36
	s_waitcnt lgkmcnt(0)
	v_mul_lo_u32 v14, s20, v14
	v_mul_lo_u32 v15, s21, v23
	v_mad_u64_u32 v[16:17], s[2:3], s20, v23, 0
	v_fmac_f32_e32 v11, 0xbf400000, v13
	v_fmac_f32_e32 v12, v13, v11
	v_add_u32_e32 v11, -1, v1
	v_fmac_f32_e32 v24, v13, v12
	v_min_i32_e32 v11, s14, v11
	v_min_i32_e32 v13, s14, v1
	v_ashrrev_i32_e32 v18, 31, v22
	v_add3_u32 v17, v17, v14, v15
	v_max_i32_e32 v15, 0, v11
	v_max_i32_e32 v28, 0, v13
	v_mul_lo_u32 v20, s22, v18
	v_mul_lo_u32 v21, s23, v22
	v_mad_u64_u32 v[18:19], s[2:3], s22, v22, 0
	v_mad_u64_u32 v[11:12], s[2:3], s12, v15, 0
	v_mad_u64_u32 v[13:14], s[2:3], s12, v28, 0
	v_add3_u32 v19, v19, v20, v21
	v_lshlrev_b64 v[4:5], 1, v[4:5]
	v_mad_u64_u32 v[20:21], s[2:3], s13, v15, v[12:13]
	v_mov_b32_e32 v12, v14
	v_mad_u64_u32 v[14:15], s[2:3], s13, v28, v[12:13]
	v_add_u32_e32 v12, 1, v1
	v_min_i32_e32 v12, s14, v12
	v_add_u32_e32 v1, 2, v1
	v_max_i32_e32 v12, 0, v12
	v_min_i32_e32 v1, s14, v1
	v_mad_u64_u32 v[32:33], s[2:3], s12, v12, 0
	v_max_i32_e32 v15, 0, v1
	v_mad_u64_u32 v[34:35], s[2:3], s12, v15, 0
	v_mov_b32_e32 v1, v33
	v_mad_u64_u32 v[28:29], s[2:3], s13, v12, v[1:2]
	v_mov_b32_e32 v1, v35
	;; [unrolled: 2-line block ×3, first 2 shown]
	v_fmac_f32_e32 v1, 0x3fa00000, v31
	s_abs_i32 s14, s24
	v_mul_f32_e32 v1, v31, v1
	v_cvt_f32_u32_e32 v15, s14
	v_mov_b32_e32 v33, v28
	v_fma_f32 v28, v1, v31, 1.0
	v_mov_b32_e32 v1, 0xc0100000
	v_fmac_f32_e32 v1, 0x3fa00000, v0
	v_mul_f32_e32 v1, v0, v1
	v_mov_b32_e32 v35, v29
	v_fma_f32 v29, v0, v1, 1.0
	v_rcp_iflag_f32_e32 v1, v15
	v_mov_b32_e32 v0, 0xc0100000
	v_fmac_f32_e32 v0, 0x3fa00000, v10
	v_mul_f32_e32 v0, v10, v0
	v_mul_f32_e32 v1, 0x4f7ffffe, v1
	v_cvt_u32_f32_e32 v1, v1
	s_load_dwordx2 s[2:3], s[4:5], 0x10
	s_load_dwordx2 s[12:13], s[4:5], 0x58
	s_load_dword s15, s[28:29], 0x8
	v_fma_f32 v30, v10, v0, 1.0
	v_mov_b32_e32 v0, 0xc0100000
	v_fmac_f32_e32 v0, 0x3fa00000, v36
	v_readfirstlane_b32 s21, v1
	s_sub_i32 s22, 0, s14
	v_mov_b32_e32 v12, v20
	v_mul_f32_e32 v0, v36, v0
	s_mul_i32 s22, s22, s21
	v_fma_f32 v31, v0, v36, 1.0
	s_mul_hi_u32 s22, s21, s22
	v_lshlrev_b64 v[0:1], 1, v[11:12]
	v_lshlrev_b64 v[2:3], 1, v[2:3]
	;; [unrolled: 1-line block ×9, first 2 shown]
	s_ashr_i32 s20, s24, 31
	s_add_i32 s21, s21, s22
	s_sub_i32 s22, 0, s24
	s_movk_i32 s23, 0x7fff
	s_mov_b32 s25, s7
	v_mov_b32_e32 v32, v25
	v_mov_b32_e32 v33, v25
	;; [unrolled: 1-line block ×7, first 2 shown]
.LBB6_4:                                ; =>This Inner Loop Header: Depth=1
	s_abs_i32 s27, s25
	s_mul_hi_u32 s30, s27, s21
	s_mul_i32 s31, s30, s14
	s_ashr_i32 s26, s25, 31
	s_sub_i32 s27, s27, s31
	s_xor_b32 s26, s26, s20
	s_add_i32 s31, s30, 1
	s_sub_i32 s33, s27, s14
	s_cmp_ge_u32 s27, s14
	s_cselect_b32 s30, s31, s30
	s_cselect_b32 s27, s33, s27
	s_add_i32 s31, s30, 1
	s_cmp_ge_u32 s27, s14
	s_cselect_b32 s27, s31, s30
	s_xor_b32 s27, s27, s26
	s_sub_i32 s27, s27, s26
	s_ashr_i32 s31, s27, 31
	s_mul_i32 s30, s8, s31
	s_mul_hi_u32 s33, s8, s27
	s_add_i32 s30, s33, s30
	s_mul_i32 s33, s9, s27
	s_mul_i32 s26, s22, s27
	s_add_i32 s35, s30, s33
	s_mul_i32 s34, s8, s27
	s_add_i32 s26, s25, s26
	s_lshl_b64 s[34:35], s[34:35], 1
	s_waitcnt lgkmcnt(0)
	s_add_u32 s33, s2, s34
	s_addc_u32 s36, s3, s35
	s_ashr_i32 s30, s26, 31
	s_mul_i32 s34, s10, s30
	s_mul_hi_u32 s35, s10, s26
	s_add_i32 s34, s35, s34
	s_mul_i32 s35, s11, s26
	s_add_i32 s35, s34, s35
	s_mul_i32 s34, s10, s26
	s_lshl_b64 s[34:35], s[34:35], 1
	s_add_u32 s34, s33, s34
	s_addc_u32 s33, s36, s35
	v_add_co_u32_e32 v43, vcc, s34, v0
	v_mov_b32_e32 v20, s33
	v_addc_co_u32_e32 v44, vcc, v20, v1, vcc
	v_add_co_u32_e32 v20, vcc, v43, v2
	v_addc_co_u32_e32 v21, vcc, v44, v3, vcc
	v_add_co_u32_e32 v39, vcc, v43, v4
	v_addc_co_u32_e32 v40, vcc, v44, v5, vcc
	global_load_ushort v20, v[20:21], off
	v_add_co_u32_e32 v41, vcc, v43, v6
	global_load_ushort v21, v[39:40], off
	v_addc_co_u32_e32 v42, vcc, v44, v7, vcc
	v_add_co_u32_e32 v43, vcc, v43, v8
	v_addc_co_u32_e32 v44, vcc, v44, v9, vcc
	v_mov_b32_e32 v47, s33
	s_mul_i32 s31, s16, s31
	s_waitcnt vmcnt(1)
	v_lshlrev_b32_e32 v20, 16, v20
	s_waitcnt vmcnt(0)
	v_lshlrev_b32_e32 v21, 16, v21
	v_mul_f32_e32 v39, v30, v21
	v_fmac_f32_e32 v39, v27, v20
	global_load_ushort v20, v[41:42], off
	s_waitcnt vmcnt(0)
	v_lshlrev_b32_e32 v20, 16, v20
	v_fmac_f32_e32 v39, v28, v20
	global_load_ushort v20, v[43:44], off
	v_add_co_u32_e32 v44, vcc, s34, v10
	s_waitcnt vmcnt(0)
	v_lshlrev_b32_e32 v20, 16, v20
	v_fmac_f32_e32 v39, v25, v20
	v_mov_b32_e32 v20, s33
	v_addc_co_u32_e32 v45, vcc, v20, v11, vcc
	v_add_co_u32_e32 v20, vcc, v44, v2
	v_addc_co_u32_e32 v21, vcc, v45, v3, vcc
	v_add_co_u32_e32 v40, vcc, v44, v4
	v_addc_co_u32_e32 v41, vcc, v45, v5, vcc
	global_load_ushort v20, v[20:21], off
	v_add_co_u32_e32 v42, vcc, v44, v6
	global_load_ushort v21, v[40:41], off
	v_addc_co_u32_e32 v43, vcc, v45, v7, vcc
	v_add_co_u32_e32 v44, vcc, v44, v8
	v_addc_co_u32_e32 v45, vcc, v45, v9, vcc
	s_waitcnt vmcnt(1)
	v_lshlrev_b32_e32 v20, 16, v20
	s_waitcnt vmcnt(0)
	v_lshlrev_b32_e32 v21, 16, v21
	v_mul_f32_e32 v40, v30, v21
	v_fmac_f32_e32 v40, v27, v20
	global_load_ushort v20, v[42:43], off
	global_load_ushort v21, v[44:45], off
	s_waitcnt vmcnt(1)
	v_lshlrev_b32_e32 v20, 16, v20
	s_waitcnt vmcnt(0)
	v_lshlrev_b32_e32 v21, 16, v21
	v_fmac_f32_e32 v40, v28, v20
	v_fmac_f32_e32 v40, v25, v21
	v_add_co_u32_e32 v20, vcc, s34, v12
	v_mov_b32_e32 v21, s33
	v_addc_co_u32_e32 v21, vcc, v21, v13, vcc
	v_add_co_u32_e32 v41, vcc, v20, v2
	v_addc_co_u32_e32 v42, vcc, v21, v3, vcc
	v_add_co_u32_e32 v43, vcc, v20, v4
	;; [unrolled: 2-line block ×7, first 2 shown]
	v_mul_f32_e32 v40, v29, v40
	v_addc_co_u32_e32 v50, vcc, v54, v5, vcc
	v_fmac_f32_e32 v40, v26, v39
	global_load_ushort v39, v[43:44], off
	s_nop 0
	global_load_ushort v43, v[47:48], off
	global_load_ushort v44, v[49:50], off
	s_nop 0
	global_load_ushort v41, v[41:42], off
	v_add_co_u32_e32 v51, vcc, v53, v6
	v_addc_co_u32_e32 v52, vcc, v54, v7, vcc
	v_add_co_u32_e32 v53, vcc, v53, v8
	v_addc_co_u32_e32 v54, vcc, v54, v9, vcc
	s_mul_hi_u32 s33, s16, s27
	s_add_i32 s31, s33, s31
	s_mul_i32 s33, s17, s27
	s_add_i32 s35, s31, s33
	s_mul_i32 s34, s16, s27
	s_lshl_b64 s[34:35], s[34:35], 1
	s_add_u32 s31, s12, s34
	s_mul_i32 s27, s18, s30
	s_mul_hi_u32 s30, s18, s26
	s_addc_u32 s33, s13, s35
	s_add_i32 s27, s30, s27
	s_mul_i32 s30, s19, s26
	s_add_i32 s27, s27, s30
	s_mul_i32 s26, s18, s26
	s_lshl_b64 s[26:27], s[26:27], 1
	s_add_u32 s26, s31, s26
	s_addc_u32 s27, s33, s27
	s_add_i32 s25, s25, s15
	s_cmp_lt_i32 s25, s6
	s_waitcnt vmcnt(3)
	v_lshlrev_b32_e32 v39, 16, v39
	s_waitcnt vmcnt(2)
	v_lshlrev_b32_e32 v43, 16, v43
	v_mul_f32_e32 v39, v34, v39
	v_mul_f32_e32 v43, v35, v43
	s_waitcnt vmcnt(0)
	v_lshlrev_b32_e32 v41, 16, v41
	v_lshlrev_b32_e32 v42, 16, v44
	v_fmac_f32_e32 v43, v30, v42
	v_fmac_f32_e32 v39, v27, v41
	global_load_ushort v41, v[45:46], off
	global_load_ushort v42, v[51:52], off
	s_waitcnt vmcnt(1)
	v_lshlrev_b32_e32 v41, 16, v41
	v_fmac_f32_e32 v39, v36, v41
	global_load_ushort v41, v[53:54], off
	s_nop 0
	global_load_ushort v20, v[20:21], off
	s_waitcnt vmcnt(2)
	v_lshlrev_b32_e32 v42, 16, v42
	v_fmac_f32_e32 v43, v37, v42
	s_waitcnt vmcnt(1)
	v_lshlrev_b32_e32 v21, 16, v41
	s_waitcnt vmcnt(0)
	v_lshlrev_b32_e32 v20, 16, v20
	v_fmac_f32_e32 v39, v32, v20
	v_fmac_f32_e32 v43, v33, v21
	;; [unrolled: 1-line block ×4, first 2 shown]
	v_bfe_u32 v20, v40, 16, 1
	v_add3_u32 v20, v40, v20, s23
	v_lshrrev_b32_e32 v20, 16, v20
	v_cmp_o_f32_e32 vcc, v40, v40
	v_cndmask_b32_e32 v39, v38, v20, vcc
	v_add_co_u32_e32 v20, vcc, s26, v16
	v_mov_b32_e32 v21, s27
	v_addc_co_u32_e32 v21, vcc, v21, v17, vcc
	v_add_co_u32_e32 v20, vcc, v20, v18
	v_addc_co_u32_e32 v21, vcc, v21, v19, vcc
	global_store_short v[20:21], v39, off
	s_cbranch_scc1 .LBB6_4
.LBB6_5:
	s_mov_b64 s[12:13], 0
.LBB6_6:
	s_andn2_b64 vcc, exec, s[12:13]
	s_cbranch_vccnz .LBB6_10
; %bb.7:
	s_and_b64 vcc, exec, s[0:1]
	s_cbranch_vccnz .LBB6_10
; %bb.8:
	s_load_dwordx8 s[8:15], s[4:5], 0x38
	v_ashrrev_i32_e32 v4, 31, v23
	s_load_dwordx8 s[16:23], s[4:5], 0x80
	v_ashrrev_i32_e32 v6, 31, v22
	s_waitcnt lgkmcnt(0)
	v_mul_lo_u32 v2, s13, v23
	v_mul_lo_u32 v3, s12, v4
	v_mad_u64_u32 v[0:1], s[0:1], s12, v23, 0
	s_load_dwordx2 s[0:1], s[4:5], 0x10
	s_load_dwordx2 s[2:3], s[4:5], 0x58
	v_mul_lo_u32 v11, s20, v4
	v_add3_u32 v1, v1, v3, v2
	v_mad_u64_u32 v[2:3], s[4:5], s14, v22, 0
	v_mad_u64_u32 v[4:5], s[4:5], s20, v23, 0
	s_abs_i32 s4, s24
	v_cvt_f32_u32_e32 v13, s4
	v_mul_lo_u32 v8, s15, v22
	v_mul_lo_u32 v9, s14, v6
	;; [unrolled: 1-line block ×3, first 2 shown]
	v_rcp_iflag_f32_e32 v13, v13
	v_mul_lo_u32 v12, s23, v22
	v_add3_u32 v3, v3, v9, v8
	v_mul_lo_u32 v14, s22, v6
	v_mul_f32_e32 v8, 0x4f7ffffe, v13
	v_cvt_u32_f32_e32 v8, v8
	v_mad_u64_u32 v[6:7], s[12:13], s22, v22, 0
	s_load_dword s5, s[28:29], 0x8
	s_sub_i32 s13, 0, s4
	v_readfirstlane_b32 s14, v8
	v_add3_u32 v5, v5, v11, v10
	v_add3_u32 v7, v7, v14, v12
	s_mul_i32 s13, s13, s14
	s_mul_hi_u32 s13, s14, s13
	v_lshlrev_b64 v[0:1], 1, v[0:1]
	v_lshlrev_b64 v[2:3], 1, v[2:3]
	v_lshlrev_b64 v[4:5], 1, v[4:5]
	v_lshlrev_b64 v[6:7], 1, v[6:7]
	s_ashr_i32 s12, s24, 31
	s_add_i32 s13, s14, s13
	s_sub_i32 s14, 0, s24
.LBB6_9:                                ; =>This Inner Loop Header: Depth=1
	s_abs_i32 s20, s7
	s_mul_hi_u32 s21, s20, s13
	s_mul_i32 s22, s21, s4
	s_ashr_i32 s15, s7, 31
	s_sub_i32 s20, s20, s22
	s_xor_b32 s15, s15, s12
	s_add_i32 s23, s21, 1
	s_sub_i32 s22, s20, s4
	s_cmp_ge_u32 s20, s4
	s_cselect_b32 s21, s23, s21
	s_cselect_b32 s20, s22, s20
	s_add_i32 s22, s21, 1
	s_cmp_ge_u32 s20, s4
	s_cselect_b32 s20, s22, s21
	s_xor_b32 s20, s20, s15
	s_sub_i32 s15, s20, s15
	s_mul_i32 s21, s14, s15
	s_ashr_i32 s24, s15, 31
	s_mul_hi_u32 s22, s8, s15
	s_add_i32 s25, s7, s21
	s_mul_i32 s21, s8, s24
	s_mul_i32 s23, s9, s15
	s_add_i32 s21, s22, s21
	s_mul_i32 s20, s8, s15
	s_add_i32 s21, s21, s23
	s_lshl_b64 s[20:21], s[20:21], 1
	s_waitcnt lgkmcnt(0)
	s_add_u32 s28, s0, s20
	s_addc_u32 s29, s1, s21
	s_ashr_i32 s30, s25, 31
	s_mul_hi_u32 s26, s10, s25
	s_mul_i32 s20, s10, s30
	s_mul_i32 s27, s11, s25
	s_add_i32 s20, s26, s20
	s_mul_i32 s22, s10, s25
	s_add_i32 s23, s20, s27
	s_lshl_b64 s[20:21], s[22:23], 1
	s_add_u32 s20, s28, s20
	s_addc_u32 s21, s29, s21
	v_mov_b32_e32 v8, s21
	v_add_co_u32_e32 v9, vcc, s20, v0
	v_addc_co_u32_e32 v10, vcc, v8, v1, vcc
	v_add_co_u32_e32 v8, vcc, v9, v2
	v_addc_co_u32_e32 v9, vcc, v10, v3, vcc
	global_load_ushort v10, v[8:9], off
	s_mul_hi_u32 s21, s16, s15
	s_mul_i32 s23, s17, s15
	s_mul_i32 s20, s16, s15
	;; [unrolled: 1-line block ×3, first 2 shown]
	s_add_i32 s15, s21, s15
	s_add_i32 s21, s15, s23
	s_lshl_b64 s[20:21], s[20:21], 1
	s_mul_hi_u32 s24, s18, s25
	s_mul_i32 s26, s19, s25
	s_mul_i32 s22, s18, s25
	;; [unrolled: 1-line block ×3, first 2 shown]
	s_add_u32 s15, s2, s20
	s_addc_u32 s27, s3, s21
	s_add_i32 s20, s24, s25
	s_add_i32 s23, s20, s26
	s_lshl_b64 s[20:21], s[22:23], 1
	s_add_u32 s15, s15, s20
	s_addc_u32 s20, s27, s21
	v_mov_b32_e32 v8, s20
	v_add_co_u32_e32 v9, vcc, s15, v4
	v_addc_co_u32_e32 v11, vcc, v8, v5, vcc
	s_add_i32 s7, s7, s5
	v_add_co_u32_e32 v8, vcc, v9, v6
	s_cmp_ge_i32 s7, s6
	v_addc_co_u32_e32 v9, vcc, v11, v7, vcc
	s_waitcnt vmcnt(0)
	global_store_short v[8:9], v10, off
	s_cbranch_scc0 .LBB6_9
.LBB6_10:
	s_endpgm
	.section	.rodata,"a",@progbits
	.p2align	6, 0x0
	.amdhsa_kernel _ZN2at6native12_GLOBAL__N_137upsample_bicubic2d_out_frame_parallelIN3c108BFloat16EfEEviT0_S5_bN5torch10headeronly6detail27GenericPackedTensorAccessorINS8_14TensorAccessorINS3_8ArrayRefIlEEKT_Lm3ENS7_16DefaultPtrTraitsElEENS_6detail16IndexBoundsCheckILm4ElEESE_Lm4ESF_lEENS9_INSA_ISC_SD_Lm3ESF_lEESJ_SD_Lm4ESF_lEE
		.amdhsa_group_segment_fixed_size 0
		.amdhsa_private_segment_fixed_size 0
		.amdhsa_kernarg_size 416
		.amdhsa_user_sgpr_count 6
		.amdhsa_user_sgpr_private_segment_buffer 1
		.amdhsa_user_sgpr_dispatch_ptr 0
		.amdhsa_user_sgpr_queue_ptr 0
		.amdhsa_user_sgpr_kernarg_segment_ptr 1
		.amdhsa_user_sgpr_dispatch_id 0
		.amdhsa_user_sgpr_flat_scratch_init 0
		.amdhsa_user_sgpr_private_segment_size 0
		.amdhsa_uses_dynamic_stack 0
		.amdhsa_system_sgpr_private_segment_wavefront_offset 0
		.amdhsa_system_sgpr_workgroup_id_x 1
		.amdhsa_system_sgpr_workgroup_id_y 0
		.amdhsa_system_sgpr_workgroup_id_z 1
		.amdhsa_system_sgpr_workgroup_info 0
		.amdhsa_system_vgpr_workitem_id 0
		.amdhsa_next_free_vgpr 55
		.amdhsa_next_free_sgpr 37
		.amdhsa_reserve_vcc 1
		.amdhsa_reserve_flat_scratch 0
		.amdhsa_float_round_mode_32 0
		.amdhsa_float_round_mode_16_64 0
		.amdhsa_float_denorm_mode_32 3
		.amdhsa_float_denorm_mode_16_64 3
		.amdhsa_dx10_clamp 1
		.amdhsa_ieee_mode 1
		.amdhsa_fp16_overflow 0
		.amdhsa_exception_fp_ieee_invalid_op 0
		.amdhsa_exception_fp_denorm_src 0
		.amdhsa_exception_fp_ieee_div_zero 0
		.amdhsa_exception_fp_ieee_overflow 0
		.amdhsa_exception_fp_ieee_underflow 0
		.amdhsa_exception_fp_ieee_inexact 0
		.amdhsa_exception_int_div_zero 0
	.end_amdhsa_kernel
	.section	.text._ZN2at6native12_GLOBAL__N_137upsample_bicubic2d_out_frame_parallelIN3c108BFloat16EfEEviT0_S5_bN5torch10headeronly6detail27GenericPackedTensorAccessorINS8_14TensorAccessorINS3_8ArrayRefIlEEKT_Lm3ENS7_16DefaultPtrTraitsElEENS_6detail16IndexBoundsCheckILm4ElEESE_Lm4ESF_lEENS9_INSA_ISC_SD_Lm3ESF_lEESJ_SD_Lm4ESF_lEE,"axG",@progbits,_ZN2at6native12_GLOBAL__N_137upsample_bicubic2d_out_frame_parallelIN3c108BFloat16EfEEviT0_S5_bN5torch10headeronly6detail27GenericPackedTensorAccessorINS8_14TensorAccessorINS3_8ArrayRefIlEEKT_Lm3ENS7_16DefaultPtrTraitsElEENS_6detail16IndexBoundsCheckILm4ElEESE_Lm4ESF_lEENS9_INSA_ISC_SD_Lm3ESF_lEESJ_SD_Lm4ESF_lEE,comdat
.Lfunc_end6:
	.size	_ZN2at6native12_GLOBAL__N_137upsample_bicubic2d_out_frame_parallelIN3c108BFloat16EfEEviT0_S5_bN5torch10headeronly6detail27GenericPackedTensorAccessorINS8_14TensorAccessorINS3_8ArrayRefIlEEKT_Lm3ENS7_16DefaultPtrTraitsElEENS_6detail16IndexBoundsCheckILm4ElEESE_Lm4ESF_lEENS9_INSA_ISC_SD_Lm3ESF_lEESJ_SD_Lm4ESF_lEE, .Lfunc_end6-_ZN2at6native12_GLOBAL__N_137upsample_bicubic2d_out_frame_parallelIN3c108BFloat16EfEEviT0_S5_bN5torch10headeronly6detail27GenericPackedTensorAccessorINS8_14TensorAccessorINS3_8ArrayRefIlEEKT_Lm3ENS7_16DefaultPtrTraitsElEENS_6detail16IndexBoundsCheckILm4ElEESE_Lm4ESF_lEENS9_INSA_ISC_SD_Lm3ESF_lEESJ_SD_Lm4ESF_lEE
                                        ; -- End function
	.set _ZN2at6native12_GLOBAL__N_137upsample_bicubic2d_out_frame_parallelIN3c108BFloat16EfEEviT0_S5_bN5torch10headeronly6detail27GenericPackedTensorAccessorINS8_14TensorAccessorINS3_8ArrayRefIlEEKT_Lm3ENS7_16DefaultPtrTraitsElEENS_6detail16IndexBoundsCheckILm4ElEESE_Lm4ESF_lEENS9_INSA_ISC_SD_Lm3ESF_lEESJ_SD_Lm4ESF_lEE.num_vgpr, 55
	.set _ZN2at6native12_GLOBAL__N_137upsample_bicubic2d_out_frame_parallelIN3c108BFloat16EfEEviT0_S5_bN5torch10headeronly6detail27GenericPackedTensorAccessorINS8_14TensorAccessorINS3_8ArrayRefIlEEKT_Lm3ENS7_16DefaultPtrTraitsElEENS_6detail16IndexBoundsCheckILm4ElEESE_Lm4ESF_lEENS9_INSA_ISC_SD_Lm3ESF_lEESJ_SD_Lm4ESF_lEE.num_agpr, 0
	.set _ZN2at6native12_GLOBAL__N_137upsample_bicubic2d_out_frame_parallelIN3c108BFloat16EfEEviT0_S5_bN5torch10headeronly6detail27GenericPackedTensorAccessorINS8_14TensorAccessorINS3_8ArrayRefIlEEKT_Lm3ENS7_16DefaultPtrTraitsElEENS_6detail16IndexBoundsCheckILm4ElEESE_Lm4ESF_lEENS9_INSA_ISC_SD_Lm3ESF_lEESJ_SD_Lm4ESF_lEE.numbered_sgpr, 37
	.set _ZN2at6native12_GLOBAL__N_137upsample_bicubic2d_out_frame_parallelIN3c108BFloat16EfEEviT0_S5_bN5torch10headeronly6detail27GenericPackedTensorAccessorINS8_14TensorAccessorINS3_8ArrayRefIlEEKT_Lm3ENS7_16DefaultPtrTraitsElEENS_6detail16IndexBoundsCheckILm4ElEESE_Lm4ESF_lEENS9_INSA_ISC_SD_Lm3ESF_lEESJ_SD_Lm4ESF_lEE.num_named_barrier, 0
	.set _ZN2at6native12_GLOBAL__N_137upsample_bicubic2d_out_frame_parallelIN3c108BFloat16EfEEviT0_S5_bN5torch10headeronly6detail27GenericPackedTensorAccessorINS8_14TensorAccessorINS3_8ArrayRefIlEEKT_Lm3ENS7_16DefaultPtrTraitsElEENS_6detail16IndexBoundsCheckILm4ElEESE_Lm4ESF_lEENS9_INSA_ISC_SD_Lm3ESF_lEESJ_SD_Lm4ESF_lEE.private_seg_size, 0
	.set _ZN2at6native12_GLOBAL__N_137upsample_bicubic2d_out_frame_parallelIN3c108BFloat16EfEEviT0_S5_bN5torch10headeronly6detail27GenericPackedTensorAccessorINS8_14TensorAccessorINS3_8ArrayRefIlEEKT_Lm3ENS7_16DefaultPtrTraitsElEENS_6detail16IndexBoundsCheckILm4ElEESE_Lm4ESF_lEENS9_INSA_ISC_SD_Lm3ESF_lEESJ_SD_Lm4ESF_lEE.uses_vcc, 1
	.set _ZN2at6native12_GLOBAL__N_137upsample_bicubic2d_out_frame_parallelIN3c108BFloat16EfEEviT0_S5_bN5torch10headeronly6detail27GenericPackedTensorAccessorINS8_14TensorAccessorINS3_8ArrayRefIlEEKT_Lm3ENS7_16DefaultPtrTraitsElEENS_6detail16IndexBoundsCheckILm4ElEESE_Lm4ESF_lEENS9_INSA_ISC_SD_Lm3ESF_lEESJ_SD_Lm4ESF_lEE.uses_flat_scratch, 0
	.set _ZN2at6native12_GLOBAL__N_137upsample_bicubic2d_out_frame_parallelIN3c108BFloat16EfEEviT0_S5_bN5torch10headeronly6detail27GenericPackedTensorAccessorINS8_14TensorAccessorINS3_8ArrayRefIlEEKT_Lm3ENS7_16DefaultPtrTraitsElEENS_6detail16IndexBoundsCheckILm4ElEESE_Lm4ESF_lEENS9_INSA_ISC_SD_Lm3ESF_lEESJ_SD_Lm4ESF_lEE.has_dyn_sized_stack, 0
	.set _ZN2at6native12_GLOBAL__N_137upsample_bicubic2d_out_frame_parallelIN3c108BFloat16EfEEviT0_S5_bN5torch10headeronly6detail27GenericPackedTensorAccessorINS8_14TensorAccessorINS3_8ArrayRefIlEEKT_Lm3ENS7_16DefaultPtrTraitsElEENS_6detail16IndexBoundsCheckILm4ElEESE_Lm4ESF_lEENS9_INSA_ISC_SD_Lm3ESF_lEESJ_SD_Lm4ESF_lEE.has_recursion, 0
	.set _ZN2at6native12_GLOBAL__N_137upsample_bicubic2d_out_frame_parallelIN3c108BFloat16EfEEviT0_S5_bN5torch10headeronly6detail27GenericPackedTensorAccessorINS8_14TensorAccessorINS3_8ArrayRefIlEEKT_Lm3ENS7_16DefaultPtrTraitsElEENS_6detail16IndexBoundsCheckILm4ElEESE_Lm4ESF_lEENS9_INSA_ISC_SD_Lm3ESF_lEESJ_SD_Lm4ESF_lEE.has_indirect_call, 0
	.section	.AMDGPU.csdata,"",@progbits
; Kernel info:
; codeLenInByte = 2620
; TotalNumSgprs: 41
; NumVgprs: 55
; ScratchSize: 0
; MemoryBound: 0
; FloatMode: 240
; IeeeMode: 1
; LDSByteSize: 0 bytes/workgroup (compile time only)
; SGPRBlocks: 5
; VGPRBlocks: 13
; NumSGPRsForWavesPerEU: 41
; NumVGPRsForWavesPerEU: 55
; Occupancy: 4
; WaveLimiterHint : 1
; COMPUTE_PGM_RSRC2:SCRATCH_EN: 0
; COMPUTE_PGM_RSRC2:USER_SGPR: 6
; COMPUTE_PGM_RSRC2:TRAP_HANDLER: 0
; COMPUTE_PGM_RSRC2:TGID_X_EN: 1
; COMPUTE_PGM_RSRC2:TGID_Y_EN: 0
; COMPUTE_PGM_RSRC2:TGID_Z_EN: 1
; COMPUTE_PGM_RSRC2:TIDIG_COMP_CNT: 0
	.section	.text._ZN2at6native12_GLOBAL__N_128upsample_bicubic2d_out_frameIN3c108BFloat16EfEEviT0_S5_bN5torch10headeronly6detail27GenericPackedTensorAccessorINS8_14TensorAccessorINS3_8ArrayRefIlEEKT_Lm3ENS7_16DefaultPtrTraitsElEENS_6detail16IndexBoundsCheckILm4ElEESE_Lm4ESF_lEENS9_INSA_ISC_SD_Lm3ESF_lEESJ_SD_Lm4ESF_lEE,"axG",@progbits,_ZN2at6native12_GLOBAL__N_128upsample_bicubic2d_out_frameIN3c108BFloat16EfEEviT0_S5_bN5torch10headeronly6detail27GenericPackedTensorAccessorINS8_14TensorAccessorINS3_8ArrayRefIlEEKT_Lm3ENS7_16DefaultPtrTraitsElEENS_6detail16IndexBoundsCheckILm4ElEESE_Lm4ESF_lEENS9_INSA_ISC_SD_Lm3ESF_lEESJ_SD_Lm4ESF_lEE,comdat
	.globl	_ZN2at6native12_GLOBAL__N_128upsample_bicubic2d_out_frameIN3c108BFloat16EfEEviT0_S5_bN5torch10headeronly6detail27GenericPackedTensorAccessorINS8_14TensorAccessorINS3_8ArrayRefIlEEKT_Lm3ENS7_16DefaultPtrTraitsElEENS_6detail16IndexBoundsCheckILm4ElEESE_Lm4ESF_lEENS9_INSA_ISC_SD_Lm3ESF_lEESJ_SD_Lm4ESF_lEE ; -- Begin function _ZN2at6native12_GLOBAL__N_128upsample_bicubic2d_out_frameIN3c108BFloat16EfEEviT0_S5_bN5torch10headeronly6detail27GenericPackedTensorAccessorINS8_14TensorAccessorINS3_8ArrayRefIlEEKT_Lm3ENS7_16DefaultPtrTraitsElEENS_6detail16IndexBoundsCheckILm4ElEESE_Lm4ESF_lEENS9_INSA_ISC_SD_Lm3ESF_lEESJ_SD_Lm4ESF_lEE
	.p2align	8
	.type	_ZN2at6native12_GLOBAL__N_128upsample_bicubic2d_out_frameIN3c108BFloat16EfEEviT0_S5_bN5torch10headeronly6detail27GenericPackedTensorAccessorINS8_14TensorAccessorINS3_8ArrayRefIlEEKT_Lm3ENS7_16DefaultPtrTraitsElEENS_6detail16IndexBoundsCheckILm4ElEESE_Lm4ESF_lEENS9_INSA_ISC_SD_Lm3ESF_lEESJ_SD_Lm4ESF_lEE,@function
_ZN2at6native12_GLOBAL__N_128upsample_bicubic2d_out_frameIN3c108BFloat16EfEEviT0_S5_bN5torch10headeronly6detail27GenericPackedTensorAccessorINS8_14TensorAccessorINS3_8ArrayRefIlEEKT_Lm3ENS7_16DefaultPtrTraitsElEENS_6detail16IndexBoundsCheckILm4ElEESE_Lm4ESF_lEENS9_INSA_ISC_SD_Lm3ESF_lEESJ_SD_Lm4ESF_lEE: ; @_ZN2at6native12_GLOBAL__N_128upsample_bicubic2d_out_frameIN3c108BFloat16EfEEviT0_S5_bN5torch10headeronly6detail27GenericPackedTensorAccessorINS8_14TensorAccessorINS3_8ArrayRefIlEEKT_Lm3ENS7_16DefaultPtrTraitsElEENS_6detail16IndexBoundsCheckILm4ElEESE_Lm4ESF_lEENS9_INSA_ISC_SD_Lm3ESF_lEESJ_SD_Lm4ESF_lEE
; %bb.0:
	s_mov_b64 s[38:39], s[2:3]
	s_mov_b64 s[36:37], s[0:1]
	s_add_u32 s36, s36, s7
	s_load_dword s7, s[4:5], 0xac
	s_load_dwordx4 s[0:3], s[4:5], 0x0
	s_addc_u32 s37, s37, 0
	s_waitcnt lgkmcnt(0)
	s_and_b32 s7, s7, 0xffff
	s_mul_i32 s6, s6, s7
	v_add_u32_e32 v0, s6, v0
	v_cmp_gt_i32_e32 vcc, s0, v0
	s_and_saveexec_b64 s[6:7], vcc
	s_cbranch_execz .LBB7_14
; %bb.1:
	s_load_dwordx4 s[16:19], s[4:5], 0x70
	v_sub_u32_e32 v3, 0, v0
	v_max_i32_e32 v3, v0, v3
	s_load_dwordx8 s[8:15], s[4:5], 0x18
	s_mov_b64 s[20:21], -1
	s_waitcnt lgkmcnt(0)
	s_abs_i32 s0, s18
	v_cvt_f32_u32_e32 v1, s0
	s_sub_i32 s6, 0, s0
	v_xor_b32_e32 v4, s18, v0
	v_ashrrev_i32_e32 v4, 31, v4
	v_rcp_iflag_f32_e32 v1, v1
	s_cmp_lg_u32 s12, s16
	v_mul_f32_e32 v1, 0x4f7ffffe, v1
	v_cvt_u32_f32_e32 v1, v1
	v_mul_lo_u32 v2, s6, v1
	s_cselect_b64 s[6:7], -1, 0
	s_cmp_lg_u32 s14, s18
	s_cselect_b64 s[16:17], -1, 0
	v_mul_hi_u32 v2, v1, v2
	s_or_b64 s[16:17], s[16:17], s[6:7]
	s_cmp_gt_i32 s8, 0
	s_cselect_b64 s[6:7], -1, 0
	v_add_u32_e32 v1, v1, v2
	v_mul_hi_u32 v1, v3, v1
	v_mul_lo_u32 v2, v1, s0
	v_add_u32_e32 v5, 1, v1
	v_sub_u32_e32 v2, v3, v2
	v_cmp_le_u32_e32 vcc, s0, v2
	v_subrev_u32_e32 v3, s0, v2
	v_cndmask_b32_e32 v1, v1, v5, vcc
	v_cndmask_b32_e32 v2, v2, v3, vcc
	v_add_u32_e32 v3, 1, v1
	v_cmp_le_u32_e32 vcc, s0, v2
	v_cndmask_b32_e32 v1, v1, v3, vcc
	v_xor_b32_e32 v1, v1, v4
	v_sub_u32_e32 v11, v1, v4
	v_mul_lo_u32 v1, v11, s18
	s_and_b64 vcc, exec, s[16:17]
	v_sub_u32_e32 v10, v0, v1
	s_cbranch_vccz .LBB7_8
; %bb.2:
	s_andn2_b64 vcc, exec, s[6:7]
	buffer_store_dword v11, off, s[36:39], 0 offset:24 ; 4-byte Folded Spill
	buffer_store_dword v10, off, s[36:39], 0 offset:20 ; 4-byte Folded Spill
	s_cbranch_vccnz .LBB7_7
; %bb.3:
	buffer_load_dword v11, off, s[36:39], 0 offset:24 ; 4-byte Folded Reload
	buffer_load_dword v14, off, s[36:39], 0 offset:20 ; 4-byte Folded Reload
	s_bitcmp1_b32 s3, 0
	s_cselect_b64 vcc, -1, 0
	s_cmp_gt_i32 s10, 0
	v_mov_b32_e32 v47, 0x40400000
	s_mov_b32 s9, 0
	s_movk_i32 s11, 0x7fff
	s_waitcnt vmcnt(1)
	v_cvt_f32_i32_e32 v0, v11
	s_waitcnt vmcnt(0)
	v_cvt_f32_i32_e32 v1, v14
	v_mul_f32_e32 v2, s1, v0
	v_add_f32_e32 v0, 0.5, v0
	v_fma_f32 v0, s1, v0, -0.5
	v_cndmask_b32_e32 v2, v0, v2, vcc
	v_floor_f32_e32 v0, v2
	v_cvt_i32_f32_e32 v4, v0
	v_mul_f32_e32 v0, s2, v1
	v_add_f32_e32 v1, 0.5, v1
	v_fma_f32 v1, s2, v1, -0.5
	v_cndmask_b32_e32 v3, v1, v0, vcc
	v_floor_f32_e32 v0, v3
	v_cvt_i32_f32_e32 v5, v0
	s_cselect_b64 s[0:1], -1, 0
	s_add_i32 s2, s12, -1
	s_add_i32 s3, s14, -1
	v_add_u32_e32 v0, -1, v5
	s_load_dwordx8 s[20:27], s[4:5], 0x80
	s_load_dwordx8 s[12:19], s[4:5], 0x38
	s_load_dwordx2 s[28:29], s[4:5], 0x58
	v_min_i32_e32 v0, s3, v0
	v_max_i32_e32 v8, 0, v0
	v_ashrrev_i32_e32 v0, 31, v11
	s_waitcnt lgkmcnt(0)
	v_mul_lo_u32 v9, s25, v11
	v_mul_lo_u32 v10, s24, v0
	v_mad_u64_u32 v[0:1], s[24:25], s24, v11, 0
	v_mul_lo_u32 v12, s27, v14
	v_add_u32_e32 v11, 1, v5
	v_add3_u32 v1, v1, v10, v9
	v_ashrrev_i32_e32 v9, 31, v14
	v_mul_lo_u32 v13, s26, v9
	v_mad_u64_u32 v[9:10], s[24:25], s26, v14, 0
	v_lshlrev_b64 v[0:1], 1, v[0:1]
	v_min_i32_e32 v18, s3, v11
	v_mov_b32_e32 v11, s29
	v_add_co_u32_e32 v14, vcc, s28, v0
	v_add3_u32 v10, v10, v13, v12
	v_add_u32_e32 v6, -1, v4
	v_addc_co_u32_e32 v11, vcc, v11, v1, vcc
	v_lshlrev_b64 v[0:1], 1, v[9:10]
	v_min_i32_e32 v6, s2, v6
	v_max_i32_e32 v6, 0, v6
	v_add_co_u32_e32 v54, vcc, v14, v0
	v_mad_u64_u32 v[9:10], s[24:25], s16, v6, 0
	v_addc_co_u32_e32 v55, vcc, v11, v1, vcc
	v_mad_u64_u32 v[11:12], s[24:25], s18, v8, 0
	v_min_i32_e32 v7, s3, v5
	v_max_i32_e32 v7, 0, v7
	v_mad_u64_u32 v[13:14], s[24:25], s17, v6, v[10:11]
	v_mad_u64_u32 v[14:15], s[24:25], s18, v7, 0
	v_mov_b32_e32 v10, v12
	v_mad_u64_u32 v[16:17], s[24:25], s19, v8, v[10:11]
	v_mov_b32_e32 v8, v15
	v_max_i32_e32 v0, 0, v18
	v_mad_u64_u32 v[17:18], s[24:25], s19, v7, v[8:9]
	v_mad_u64_u32 v[18:19], s[24:25], s18, v0, 0
	v_mov_b32_e32 v12, v16
	v_mov_b32_e32 v15, v17
	;; [unrolled: 1-line block ×3, first 2 shown]
	v_mad_u64_u32 v[16:17], s[24:25], s19, v0, v[8:9]
	v_add_u32_e32 v0, 2, v5
	v_min_i32_e32 v0, s3, v0
	v_max_i32_e32 v0, 0, v0
	v_min_i32_e32 v1, s2, v4
	v_mov_b32_e32 v19, v16
	v_mad_u64_u32 v[16:17], s[24:25], s18, v0, 0
	v_max_i32_e32 v1, 0, v1
	v_mad_u64_u32 v[20:21], s[24:25], s16, v1, 0
	v_mov_b32_e32 v8, v17
	v_mad_u64_u32 v[22:23], s[18:19], s19, v0, v[8:9]
	v_mov_b32_e32 v8, v21
	v_add_u32_e32 v0, 1, v4
	v_mad_u64_u32 v[23:24], s[18:19], s17, v1, v[8:9]
	v_min_i32_e32 v0, s2, v0
	v_add_u32_e32 v1, 2, v4
	v_max_i32_e32 v0, 0, v0
	v_min_i32_e32 v1, s2, v1
	v_mad_u64_u32 v[24:25], s[18:19], s16, v0, 0
	v_max_i32_e32 v1, 0, v1
	v_mad_u64_u32 v[32:33], s[2:3], s16, v1, 0
	v_mov_b32_e32 v10, v13
	v_mov_b32_e32 v17, v22
	;; [unrolled: 1-line block ×3, first 2 shown]
	v_lshlrev_b64 v[22:23], 1, v[9:10]
	v_lshlrev_b64 v[34:35], 1, v[11:12]
	v_mov_b32_e32 v8, v25
	v_mad_u64_u32 v[25:26], s[2:3], s17, v0, v[8:9]
	v_mov_b32_e32 v8, v33
	v_lshlrev_b64 v[36:37], 1, v[14:15]
	v_add_co_u32_e32 v7, vcc, v22, v34
	v_mad_u64_u32 v[26:27], s[2:3], s17, v1, v[8:9]
	v_addc_co_u32_e32 v8, vcc, v23, v35, vcc
	v_lshlrev_b64 v[38:39], 1, v[18:19]
	v_add_co_u32_e32 v9, vcc, v36, v22
	v_addc_co_u32_e32 v10, vcc, v37, v23, vcc
	v_lshlrev_b64 v[40:41], 1, v[16:17]
	v_add_co_u32_e32 v11, vcc, v22, v38
	v_addc_co_u32_e32 v12, vcc, v23, v39, vcc
	v_add_co_u32_e32 v13, vcc, v22, v40
	v_addc_co_u32_e32 v14, vcc, v23, v41, vcc
	v_lshlrev_b64 v[22:23], 1, v[20:21]
	v_lshlrev_b64 v[30:31], 1, v[24:25]
	v_add_co_u32_e32 v15, vcc, v22, v34
	v_addc_co_u32_e32 v16, vcc, v23, v35, vcc
	v_add_co_u32_e32 v17, vcc, v22, v36
	v_addc_co_u32_e32 v18, vcc, v23, v37, vcc
	;; [unrolled: 2-line block ×3, first 2 shown]
	v_add_co_u32_e32 v21, vcc, v22, v40
	v_mov_b32_e32 v33, v26
	v_addc_co_u32_e32 v26, vcc, v23, v41, vcc
	v_add_co_u32_e32 v23, vcc, v34, v30
	v_addc_co_u32_e32 v24, vcc, v35, v31, vcc
	v_add_co_u32_e32 v25, vcc, v36, v30
	;; [unrolled: 2-line block ×4, first 2 shown]
	v_lshlrev_b64 v[42:43], 1, v[32:33]
	v_addc_co_u32_e32 v31, vcc, v41, v31, vcc
	v_add_co_u32_e32 v32, vcc, v34, v42
	v_addc_co_u32_e32 v33, vcc, v35, v43, vcc
	v_add_co_u32_e32 v34, vcc, v36, v42
	v_cvt_f32_i32_e32 v1, v5
	v_addc_co_u32_e32 v35, vcc, v37, v43, vcc
	v_cvt_f32_i32_e32 v0, v4
	v_add_co_u32_e32 v37, vcc, v42, v38
	v_addc_co_u32_e32 v38, vcc, v43, v39, vcc
	v_add_co_u32_e32 v40, vcc, v42, v40
	v_sub_f32_e32 v1, v3, v1
	v_addc_co_u32_e32 v4, vcc, v43, v41, vcc
	v_sub_f32_e32 v0, v2, v0
	v_sub_f32_e32 v2, 1.0, v1
	buffer_store_dword v4, off, s[36:39], 0 ; 4-byte Folded Spill
	v_add_f32_e32 v3, 1.0, v2
	v_mov_b32_e32 v4, 0x40700000
	v_fmac_f32_e32 v4, 0xbf400000, v3
	v_mov_b32_e32 v5, 0xc0c00000
	v_fma_f32 v4, v3, v4, v5
	v_fma_f32 v41, v3, v4, v47
	v_add_f32_e32 v3, 1.0, v0
	v_mov_b32_e32 v4, 0x40700000
	v_fmac_f32_e32 v4, 0xbf400000, v3
	v_fma_f32 v4, v3, v4, v5
	v_fma_f32 v3, v3, v4, v47
	buffer_store_dword v3, off, s[36:39], 0 offset:4 ; 4-byte Folded Spill
	v_add_f32_e32 v3, 1.0, v1
	v_mov_b32_e32 v4, 0x40700000
	v_fmac_f32_e32 v4, 0xbf400000, v3
	v_fma_f32 v4, v3, v4, v5
	v_fma_f32 v43, v4, v3, v47
	v_sub_f32_e32 v4, 1.0, v0
	v_mov_b32_e32 v3, 0x40700000
	v_add_f32_e32 v6, 1.0, v4
	v_fmac_f32_e32 v3, 0xbf400000, v6
	v_fmac_f32_e32 v5, v6, v3
	v_mov_b32_e32 v3, 0xc0100000
	v_fmac_f32_e32 v3, 0x3fa00000, v2
	v_mul_f32_e32 v3, v2, v3
	v_fma_f32 v44, v3, v2, 1.0
	v_mov_b32_e32 v2, 0xc0100000
	v_fmac_f32_e32 v2, 0x3fa00000, v0
	v_mul_f32_e32 v2, v0, v2
	v_fma_f32 v0, v0, v2, 1.0
	buffer_store_dword v0, off, s[36:39], 0 offset:8 ; 4-byte Folded Spill
	v_mov_b32_e32 v0, 0xc0100000
	v_fmac_f32_e32 v0, 0x3fa00000, v1
	v_mul_f32_e32 v0, v1, v0
	s_load_dwordx2 s[2:3], s[4:5], 0x10
	v_fma_f32 v46, v1, v0, 1.0
	v_mov_b32_e32 v0, 0xc0100000
	v_fmac_f32_e32 v0, 0x3fa00000, v4
	v_mul_f32_e32 v0, v4, v0
	v_fmac_f32_e32 v47, v6, v5
	v_fma_f32 v50, v0, v4, 1.0
	s_lshl_b64 s[16:17], s[20:21], 1
	s_lshl_b64 s[18:19], s[22:23], 1
	;; [unrolled: 1-line block ×4, first 2 shown]
	v_mov_b32_e32 v51, v41
	v_mov_b32_e32 v52, v41
	;; [unrolled: 1-line block ×6, first 2 shown]
	s_branch .LBB7_5
.LBB7_4:                                ;   in Loop: Header=BB7_5 Depth=1
	buffer_load_dword v54, off, s[36:39], 0 offset:12 ; 4-byte Folded Reload
	buffer_load_dword v55, off, s[36:39], 0 offset:16 ; 4-byte Folded Reload
	s_add_i32 s9, s9, 1
	s_add_u32 s2, s2, s12
	v_mov_b32_e32 v0, s17
	s_addc_u32 s3, s3, s13
	s_cmp_eq_u32 s9, s8
	s_waitcnt vmcnt(1)
	v_add_co_u32_e32 v54, vcc, s16, v54
	s_waitcnt vmcnt(0)
	v_addc_co_u32_e32 v55, vcc, v55, v0, vcc
	s_cbranch_scc1 .LBB7_7
.LBB7_5:                                ; =>This Loop Header: Depth=1
                                        ;     Child Loop BB7_6 Depth 2
	buffer_store_dword v54, off, s[36:39], 0 offset:12 ; 4-byte Folded Spill
	s_nop 0
	buffer_store_dword v55, off, s[36:39], 0 offset:16 ; 4-byte Folded Spill
	s_andn2_b64 vcc, exec, s[0:1]
	s_waitcnt lgkmcnt(0)
	s_mov_b64 s[20:21], s[2:3]
	s_mov_b32 s22, s10
	v_mov_b32_e32 v2, v54
	v_mov_b32_e32 v3, v55
	s_cbranch_vccnz .LBB7_4
.LBB7_6:                                ;   Parent Loop BB7_5 Depth=1
                                        ; =>  This Inner Loop Header: Depth=2
	v_add_co_u32_e32 v4, vcc, s20, v7
	v_mov_b32_e32 v54, s21
	v_addc_co_u32_e32 v5, vcc, v54, v8, vcc
	v_add_co_u32_e32 v55, vcc, s20, v9
	v_addc_co_u32_e32 v56, vcc, v54, v10, vcc
	global_load_ushort v0, v[4:5], off
	global_load_ushort v1, v[55:56], off
	v_add_co_u32_e32 v57, vcc, s20, v11
	v_mov_b32_e32 v45, v53
	v_mov_b32_e32 v53, v58
	v_addc_co_u32_e32 v58, vcc, v54, v12, vcc
	v_add_co_u32_e32 v59, vcc, s20, v13
	v_addc_co_u32_e32 v60, vcc, v54, v14, vcc
	v_add_co_u32_e32 v4, vcc, s20, v15
	;; [unrolled: 2-line block ×3, first 2 shown]
	v_mov_b32_e32 v22, v18
	v_mov_b32_e32 v42, v21
	;; [unrolled: 1-line block ×4, first 2 shown]
	s_add_i32 s22, s22, -1
	s_waitcnt vmcnt(1)
	v_lshlrev_b32_e32 v0, 16, v0
	s_waitcnt vmcnt(0)
	v_lshlrev_b32_e32 v1, 16, v1
	v_mul_f32_e32 v55, v46, v1
	v_fmac_f32_e32 v55, v43, v0
	global_load_ushort v0, v[57:58], off
	v_addc_co_u32_e32 v57, vcc, v54, v18, vcc
	v_add_co_u32_e32 v58, vcc, s20, v19
	v_mov_b32_e32 v18, v14
	v_mov_b32_e32 v14, v10
	global_load_ushort v1, v[56:57], off
	s_waitcnt vmcnt(1)
	v_lshlrev_b32_e32 v0, 16, v0
	v_fmac_f32_e32 v55, v44, v0
	global_load_ushort v0, v[59:60], off
	v_addc_co_u32_e32 v59, vcc, v54, v20, vcc
	v_add_co_u32_e32 v60, vcc, s20, v21
	v_addc_co_u32_e32 v61, vcc, v54, v26, vcc
	v_mov_b32_e32 v21, v17
	v_mov_b32_e32 v17, v13
	;; [unrolled: 1-line block ×3, first 2 shown]
	v_add_co_u32_e32 v56, vcc, s20, v23
	v_addc_co_u32_e32 v57, vcc, v54, v24, vcc
	s_waitcnt vmcnt(1)
	v_lshlrev_b32_e32 v1, 16, v1
	v_mul_f32_e32 v10, v46, v1
	s_waitcnt vmcnt(0)
	v_lshlrev_b32_e32 v0, 16, v0
	v_fmac_f32_e32 v55, v41, v0
	global_load_ushort v0, v[4:5], off
	s_waitcnt vmcnt(0)
	v_lshlrev_b32_e32 v0, 16, v0
	v_fmac_f32_e32 v10, v43, v0
	global_load_ushort v0, v[58:59], off
	global_load_ushort v1, v[60:61], off
	buffer_load_dword v9, off, s[36:39], 0  ; 4-byte Folded Reload
	v_add_co_u32_e32 v58, vcc, s20, v25
	v_addc_co_u32_e32 v59, vcc, v54, v27, vcc
	v_add_co_u32_e32 v60, vcc, s20, v28
	v_addc_co_u32_e32 v61, vcc, v54, v29, vcc
	;; [unrolled: 2-line block ×4, first 2 shown]
	v_add_co_u32_e32 v6, vcc, s20, v34
	v_mov_b32_e32 v33, v30
	v_mov_b32_e32 v30, v27
	;; [unrolled: 1-line block ×7, first 2 shown]
	v_addc_co_u32_e32 v7, vcc, v54, v35, vcc
	s_waitcnt vmcnt(2)
	v_lshlrev_b32_e32 v0, 16, v0
	s_waitcnt vmcnt(1)
	v_lshlrev_b32_e32 v1, 16, v1
	v_fmac_f32_e32 v10, v44, v0
	v_add_co_u32_e32 v0, vcc, s20, v37
	v_fmac_f32_e32 v10, v41, v1
	v_addc_co_u32_e32 v1, vcc, v54, v38, vcc
	v_mov_b32_e32 v37, v34
	v_mov_b32_e32 v34, v31
	;; [unrolled: 1-line block ×8, first 2 shown]
	v_add_co_u32_e32 v8, vcc, s20, v40
	s_waitcnt vmcnt(0)
	v_addc_co_u32_e32 v9, vcc, v54, v9, vcc
	buffer_load_dword v54, off, s[36:39], 0 offset:8 ; 4-byte Folded Reload
	s_add_u32 s20, s20, s14
	s_addc_u32 s21, s21, s15
	s_cmp_eq_u32 s22, 0
	s_waitcnt vmcnt(0)
	v_mul_f32_e32 v10, v54, v10
	buffer_load_dword v54, off, s[36:39], 0 offset:4 ; 4-byte Folded Reload
	s_waitcnt vmcnt(0)
	v_fmac_f32_e32 v10, v54, v55
	global_load_ushort v54, v[58:59], off
	global_load_ushort v55, v[62:63], off
	s_nop 0
	global_load_ushort v6, v[6:7], off
	s_nop 0
	global_load_ushort v7, v[56:57], off
	v_mov_b32_e32 v58, v53
	v_mov_b32_e32 v53, v45
	s_waitcnt vmcnt(3)
	v_lshlrev_b32_e32 v54, 16, v54
	s_waitcnt vmcnt(2)
	v_lshlrev_b32_e32 v55, 16, v55
	v_mul_f32_e32 v55, v53, v55
	s_waitcnt vmcnt(1)
	v_lshlrev_b32_e32 v6, 16, v6
	v_fmac_f32_e32 v55, v46, v6
	global_load_ushort v6, v[60:61], off
	s_nop 0
	global_load_ushort v0, v[0:1], off
	v_mul_f32_e32 v54, v58, v54
	s_waitcnt vmcnt(2)
	v_lshlrev_b32_e32 v7, 16, v7
	v_fmac_f32_e32 v54, v43, v7
	v_mov_b32_e32 v7, v11
	v_mov_b32_e32 v11, v15
	;; [unrolled: 1-line block ×8, first 2 shown]
	s_waitcnt vmcnt(1)
	v_lshlrev_b32_e32 v1, 16, v6
	s_waitcnt vmcnt(0)
	v_lshlrev_b32_e32 v0, 16, v0
	v_fmac_f32_e32 v54, v48, v1
	v_fmac_f32_e32 v55, v49, v0
	global_load_ushort v0, v[8:9], off
	global_load_ushort v1, v[4:5], off
	v_mov_b32_e32 v9, v13
	v_mov_b32_e32 v13, v17
	;; [unrolled: 1-line block ×13, first 2 shown]
	s_waitcnt vmcnt(1)
	v_lshlrev_b32_e32 v0, 16, v0
	s_waitcnt vmcnt(0)
	v_lshlrev_b32_e32 v1, 16, v1
	v_fmac_f32_e32 v54, v51, v1
	v_fmac_f32_e32 v55, v52, v0
	;; [unrolled: 1-line block ×4, first 2 shown]
	v_bfe_u32 v0, v10, 16, 1
	v_add3_u32 v0, v10, v0, s11
	v_lshrrev_b32_e32 v0, 16, v0
	v_cmp_o_f32_e32 vcc, v10, v10
	v_mov_b32_e32 v1, 0x7fc0
	v_cndmask_b32_e32 v0, v1, v0, vcc
	global_store_short v[2:3], v0, off
	v_add_co_u32_e32 v2, vcc, s18, v2
	v_mov_b32_e32 v0, s19
	v_mov_b32_e32 v10, v14
	v_mov_b32_e32 v14, v18
	v_mov_b32_e32 v18, v22
	v_addc_co_u32_e32 v3, vcc, v3, v0, vcc
	s_cbranch_scc0 .LBB7_6
	s_branch .LBB7_4
.LBB7_7:
	buffer_load_dword v10, off, s[36:39], 0 offset:20 ; 4-byte Folded Reload
	buffer_load_dword v11, off, s[36:39], 0 offset:24 ; 4-byte Folded Reload
	s_mov_b64 s[20:21], 0
.LBB7_8:
	s_andn2_b64 vcc, exec, s[20:21]
	s_cbranch_vccnz .LBB7_14
; %bb.9:
	s_andn2_b64 vcc, exec, s[6:7]
	s_cbranch_vccnz .LBB7_14
; %bb.10:
	s_load_dwordx8 s[12:19], s[4:5], 0x38
	s_waitcnt vmcnt(0)
	v_ashrrev_i32_e32 v4, 31, v11
	v_ashrrev_i32_e32 v6, 31, v10
	s_cmp_gt_i32 s10, 0
	s_cselect_b64 s[24:25], -1, 0
	s_waitcnt lgkmcnt(0)
	v_mul_lo_u32 v2, s17, v11
	v_mul_lo_u32 v3, s16, v4
	v_mad_u64_u32 v[0:1], s[0:1], s16, v11, 0
	s_load_dwordx2 s[0:1], s[4:5], 0x10
	s_load_dwordx2 s[2:3], s[4:5], 0x58
	v_add3_u32 v1, v1, v3, v2
	v_mul_lo_u32 v7, s19, v10
	v_mul_lo_u32 v8, s18, v6
	v_mad_u64_u32 v[2:3], s[6:7], s18, v10, 0
	s_load_dwordx8 s[16:23], s[4:5], 0x80
	v_lshlrev_b64 v[0:1], 1, v[0:1]
	s_waitcnt lgkmcnt(0)
	v_mov_b32_e32 v5, s1
	v_add_co_u32_e32 v9, vcc, s0, v0
	v_add3_u32 v3, v3, v8, v7
	v_addc_co_u32_e32 v5, vcc, v5, v1, vcc
	v_lshlrev_b64 v[0:1], 1, v[2:3]
	v_mul_lo_u32 v7, s21, v11
	v_mul_lo_u32 v4, s20, v4
	v_mad_u64_u32 v[2:3], s[0:1], s20, v11, 0
	v_add_co_u32_e32 v0, vcc, v9, v0
	v_addc_co_u32_e32 v1, vcc, v5, v1, vcc
	v_add3_u32 v3, v3, v4, v7
	v_mul_lo_u32 v8, s23, v10
	v_mul_lo_u32 v6, s22, v6
	v_mad_u64_u32 v[4:5], s[0:1], s22, v10, 0
	v_lshlrev_b64 v[2:3], 1, v[2:3]
	v_mov_b32_e32 v7, s3
	v_add_co_u32_e32 v9, vcc, s2, v2
	v_add3_u32 v5, v5, v6, v8
	v_addc_co_u32_e32 v7, vcc, v7, v3, vcc
	v_lshlrev_b64 v[2:3], 1, v[4:5]
	v_cndmask_b32_e64 v4, 0, 1, s[24:25]
	v_add_co_u32_e32 v2, vcc, v9, v2
	s_mov_b32 s9, 0
	v_addc_co_u32_e32 v3, vcc, v7, v3, vcc
	s_lshl_b64 s[2:3], s[16:17], 1
	s_lshl_b64 s[4:5], s[18:19], 1
	;; [unrolled: 1-line block ×4, first 2 shown]
	v_cmp_ne_u32_e64 s[0:1], 1, v4
	s_branch .LBB7_12
.LBB7_11:                               ;   in Loop: Header=BB7_12 Depth=1
	v_mov_b32_e32 v4, s3
	v_add_co_u32_e32 v2, vcc, s2, v2
	v_addc_co_u32_e32 v3, vcc, v3, v4, vcc
	s_add_i32 s9, s9, 1
	v_mov_b32_e32 v4, s7
	v_add_co_u32_e32 v0, vcc, s6, v0
	s_cmp_eq_u32 s9, s8
	v_addc_co_u32_e32 v1, vcc, v1, v4, vcc
	s_cbranch_scc1 .LBB7_14
.LBB7_12:                               ; =>This Loop Header: Depth=1
                                        ;     Child Loop BB7_13 Depth 2
	v_mov_b32_e32 v5, v1
	v_mov_b32_e32 v7, v3
	s_and_b64 vcc, exec, s[0:1]
	v_mov_b32_e32 v4, v0
	v_mov_b32_e32 v6, v2
	s_mov_b32 s11, s10
	s_cbranch_vccnz .LBB7_11
.LBB7_13:                               ;   Parent Loop BB7_12 Depth=1
                                        ; =>  This Inner Loop Header: Depth=2
	global_load_ushort v8, v[4:5], off
	v_mov_b32_e32 v10, s13
	v_add_co_u32_e32 v4, vcc, s12, v4
	v_addc_co_u32_e32 v5, vcc, v5, v10, vcc
	s_add_i32 s11, s11, -1
	v_mov_b32_e32 v9, s5
	s_cmp_eq_u32 s11, 0
	s_waitcnt vmcnt(0)
	global_store_short v[6:7], v8, off
	v_add_co_u32_e32 v6, vcc, s4, v6
	v_addc_co_u32_e32 v7, vcc, v7, v9, vcc
	s_cbranch_scc0 .LBB7_13
	s_branch .LBB7_11
.LBB7_14:
	s_endpgm
	.section	.rodata,"a",@progbits
	.p2align	6, 0x0
	.amdhsa_kernel _ZN2at6native12_GLOBAL__N_128upsample_bicubic2d_out_frameIN3c108BFloat16EfEEviT0_S5_bN5torch10headeronly6detail27GenericPackedTensorAccessorINS8_14TensorAccessorINS3_8ArrayRefIlEEKT_Lm3ENS7_16DefaultPtrTraitsElEENS_6detail16IndexBoundsCheckILm4ElEESE_Lm4ESF_lEENS9_INSA_ISC_SD_Lm3ESF_lEESJ_SD_Lm4ESF_lEE
		.amdhsa_group_segment_fixed_size 0
		.amdhsa_private_segment_fixed_size 32
		.amdhsa_kernarg_size 416
		.amdhsa_user_sgpr_count 6
		.amdhsa_user_sgpr_private_segment_buffer 1
		.amdhsa_user_sgpr_dispatch_ptr 0
		.amdhsa_user_sgpr_queue_ptr 0
		.amdhsa_user_sgpr_kernarg_segment_ptr 1
		.amdhsa_user_sgpr_dispatch_id 0
		.amdhsa_user_sgpr_flat_scratch_init 0
		.amdhsa_user_sgpr_private_segment_size 0
		.amdhsa_uses_dynamic_stack 0
		.amdhsa_system_sgpr_private_segment_wavefront_offset 1
		.amdhsa_system_sgpr_workgroup_id_x 1
		.amdhsa_system_sgpr_workgroup_id_y 0
		.amdhsa_system_sgpr_workgroup_id_z 0
		.amdhsa_system_sgpr_workgroup_info 0
		.amdhsa_system_vgpr_workitem_id 0
		.amdhsa_next_free_vgpr 64
		.amdhsa_next_free_sgpr 40
		.amdhsa_reserve_vcc 1
		.amdhsa_reserve_flat_scratch 0
		.amdhsa_float_round_mode_32 0
		.amdhsa_float_round_mode_16_64 0
		.amdhsa_float_denorm_mode_32 3
		.amdhsa_float_denorm_mode_16_64 3
		.amdhsa_dx10_clamp 1
		.amdhsa_ieee_mode 1
		.amdhsa_fp16_overflow 0
		.amdhsa_exception_fp_ieee_invalid_op 0
		.amdhsa_exception_fp_denorm_src 0
		.amdhsa_exception_fp_ieee_div_zero 0
		.amdhsa_exception_fp_ieee_overflow 0
		.amdhsa_exception_fp_ieee_underflow 0
		.amdhsa_exception_fp_ieee_inexact 0
		.amdhsa_exception_int_div_zero 0
	.end_amdhsa_kernel
	.section	.text._ZN2at6native12_GLOBAL__N_128upsample_bicubic2d_out_frameIN3c108BFloat16EfEEviT0_S5_bN5torch10headeronly6detail27GenericPackedTensorAccessorINS8_14TensorAccessorINS3_8ArrayRefIlEEKT_Lm3ENS7_16DefaultPtrTraitsElEENS_6detail16IndexBoundsCheckILm4ElEESE_Lm4ESF_lEENS9_INSA_ISC_SD_Lm3ESF_lEESJ_SD_Lm4ESF_lEE,"axG",@progbits,_ZN2at6native12_GLOBAL__N_128upsample_bicubic2d_out_frameIN3c108BFloat16EfEEviT0_S5_bN5torch10headeronly6detail27GenericPackedTensorAccessorINS8_14TensorAccessorINS3_8ArrayRefIlEEKT_Lm3ENS7_16DefaultPtrTraitsElEENS_6detail16IndexBoundsCheckILm4ElEESE_Lm4ESF_lEENS9_INSA_ISC_SD_Lm3ESF_lEESJ_SD_Lm4ESF_lEE,comdat
.Lfunc_end7:
	.size	_ZN2at6native12_GLOBAL__N_128upsample_bicubic2d_out_frameIN3c108BFloat16EfEEviT0_S5_bN5torch10headeronly6detail27GenericPackedTensorAccessorINS8_14TensorAccessorINS3_8ArrayRefIlEEKT_Lm3ENS7_16DefaultPtrTraitsElEENS_6detail16IndexBoundsCheckILm4ElEESE_Lm4ESF_lEENS9_INSA_ISC_SD_Lm3ESF_lEESJ_SD_Lm4ESF_lEE, .Lfunc_end7-_ZN2at6native12_GLOBAL__N_128upsample_bicubic2d_out_frameIN3c108BFloat16EfEEviT0_S5_bN5torch10headeronly6detail27GenericPackedTensorAccessorINS8_14TensorAccessorINS3_8ArrayRefIlEEKT_Lm3ENS7_16DefaultPtrTraitsElEENS_6detail16IndexBoundsCheckILm4ElEESE_Lm4ESF_lEENS9_INSA_ISC_SD_Lm3ESF_lEESJ_SD_Lm4ESF_lEE
                                        ; -- End function
	.set _ZN2at6native12_GLOBAL__N_128upsample_bicubic2d_out_frameIN3c108BFloat16EfEEviT0_S5_bN5torch10headeronly6detail27GenericPackedTensorAccessorINS8_14TensorAccessorINS3_8ArrayRefIlEEKT_Lm3ENS7_16DefaultPtrTraitsElEENS_6detail16IndexBoundsCheckILm4ElEESE_Lm4ESF_lEENS9_INSA_ISC_SD_Lm3ESF_lEESJ_SD_Lm4ESF_lEE.num_vgpr, 64
	.set _ZN2at6native12_GLOBAL__N_128upsample_bicubic2d_out_frameIN3c108BFloat16EfEEviT0_S5_bN5torch10headeronly6detail27GenericPackedTensorAccessorINS8_14TensorAccessorINS3_8ArrayRefIlEEKT_Lm3ENS7_16DefaultPtrTraitsElEENS_6detail16IndexBoundsCheckILm4ElEESE_Lm4ESF_lEENS9_INSA_ISC_SD_Lm3ESF_lEESJ_SD_Lm4ESF_lEE.num_agpr, 0
	.set _ZN2at6native12_GLOBAL__N_128upsample_bicubic2d_out_frameIN3c108BFloat16EfEEviT0_S5_bN5torch10headeronly6detail27GenericPackedTensorAccessorINS8_14TensorAccessorINS3_8ArrayRefIlEEKT_Lm3ENS7_16DefaultPtrTraitsElEENS_6detail16IndexBoundsCheckILm4ElEESE_Lm4ESF_lEENS9_INSA_ISC_SD_Lm3ESF_lEESJ_SD_Lm4ESF_lEE.numbered_sgpr, 40
	.set _ZN2at6native12_GLOBAL__N_128upsample_bicubic2d_out_frameIN3c108BFloat16EfEEviT0_S5_bN5torch10headeronly6detail27GenericPackedTensorAccessorINS8_14TensorAccessorINS3_8ArrayRefIlEEKT_Lm3ENS7_16DefaultPtrTraitsElEENS_6detail16IndexBoundsCheckILm4ElEESE_Lm4ESF_lEENS9_INSA_ISC_SD_Lm3ESF_lEESJ_SD_Lm4ESF_lEE.num_named_barrier, 0
	.set _ZN2at6native12_GLOBAL__N_128upsample_bicubic2d_out_frameIN3c108BFloat16EfEEviT0_S5_bN5torch10headeronly6detail27GenericPackedTensorAccessorINS8_14TensorAccessorINS3_8ArrayRefIlEEKT_Lm3ENS7_16DefaultPtrTraitsElEENS_6detail16IndexBoundsCheckILm4ElEESE_Lm4ESF_lEENS9_INSA_ISC_SD_Lm3ESF_lEESJ_SD_Lm4ESF_lEE.private_seg_size, 32
	.set _ZN2at6native12_GLOBAL__N_128upsample_bicubic2d_out_frameIN3c108BFloat16EfEEviT0_S5_bN5torch10headeronly6detail27GenericPackedTensorAccessorINS8_14TensorAccessorINS3_8ArrayRefIlEEKT_Lm3ENS7_16DefaultPtrTraitsElEENS_6detail16IndexBoundsCheckILm4ElEESE_Lm4ESF_lEENS9_INSA_ISC_SD_Lm3ESF_lEESJ_SD_Lm4ESF_lEE.uses_vcc, 1
	.set _ZN2at6native12_GLOBAL__N_128upsample_bicubic2d_out_frameIN3c108BFloat16EfEEviT0_S5_bN5torch10headeronly6detail27GenericPackedTensorAccessorINS8_14TensorAccessorINS3_8ArrayRefIlEEKT_Lm3ENS7_16DefaultPtrTraitsElEENS_6detail16IndexBoundsCheckILm4ElEESE_Lm4ESF_lEENS9_INSA_ISC_SD_Lm3ESF_lEESJ_SD_Lm4ESF_lEE.uses_flat_scratch, 0
	.set _ZN2at6native12_GLOBAL__N_128upsample_bicubic2d_out_frameIN3c108BFloat16EfEEviT0_S5_bN5torch10headeronly6detail27GenericPackedTensorAccessorINS8_14TensorAccessorINS3_8ArrayRefIlEEKT_Lm3ENS7_16DefaultPtrTraitsElEENS_6detail16IndexBoundsCheckILm4ElEESE_Lm4ESF_lEENS9_INSA_ISC_SD_Lm3ESF_lEESJ_SD_Lm4ESF_lEE.has_dyn_sized_stack, 0
	.set _ZN2at6native12_GLOBAL__N_128upsample_bicubic2d_out_frameIN3c108BFloat16EfEEviT0_S5_bN5torch10headeronly6detail27GenericPackedTensorAccessorINS8_14TensorAccessorINS3_8ArrayRefIlEEKT_Lm3ENS7_16DefaultPtrTraitsElEENS_6detail16IndexBoundsCheckILm4ElEESE_Lm4ESF_lEENS9_INSA_ISC_SD_Lm3ESF_lEESJ_SD_Lm4ESF_lEE.has_recursion, 0
	.set _ZN2at6native12_GLOBAL__N_128upsample_bicubic2d_out_frameIN3c108BFloat16EfEEviT0_S5_bN5torch10headeronly6detail27GenericPackedTensorAccessorINS8_14TensorAccessorINS3_8ArrayRefIlEEKT_Lm3ENS7_16DefaultPtrTraitsElEENS_6detail16IndexBoundsCheckILm4ElEESE_Lm4ESF_lEENS9_INSA_ISC_SD_Lm3ESF_lEESJ_SD_Lm4ESF_lEE.has_indirect_call, 0
	.section	.AMDGPU.csdata,"",@progbits
; Kernel info:
; codeLenInByte = 2740
; TotalNumSgprs: 44
; NumVgprs: 64
; ScratchSize: 32
; MemoryBound: 0
; FloatMode: 240
; IeeeMode: 1
; LDSByteSize: 0 bytes/workgroup (compile time only)
; SGPRBlocks: 5
; VGPRBlocks: 15
; NumSGPRsForWavesPerEU: 44
; NumVGPRsForWavesPerEU: 64
; Occupancy: 4
; WaveLimiterHint : 1
; COMPUTE_PGM_RSRC2:SCRATCH_EN: 1
; COMPUTE_PGM_RSRC2:USER_SGPR: 6
; COMPUTE_PGM_RSRC2:TRAP_HANDLER: 0
; COMPUTE_PGM_RSRC2:TGID_X_EN: 1
; COMPUTE_PGM_RSRC2:TGID_Y_EN: 0
; COMPUTE_PGM_RSRC2:TGID_Z_EN: 0
; COMPUTE_PGM_RSRC2:TIDIG_COMP_CNT: 0
	.section	.text._ZN2at6native12_GLOBAL__N_137upsample_bicubic2d_backward_out_frameIddEEviT0_S3_bN5torch10headeronly6detail27GenericPackedTensorAccessorINS6_14TensorAccessorIN3c108ArrayRefIlEET_Lm3ENS5_16DefaultPtrTraitsElEENS_6detail16IndexBoundsCheckILm4ElEESC_Lm4ESD_lEENS7_INS8_ISB_KSC_Lm3ESD_lEESH_SJ_Lm4ESD_lEE,"axG",@progbits,_ZN2at6native12_GLOBAL__N_137upsample_bicubic2d_backward_out_frameIddEEviT0_S3_bN5torch10headeronly6detail27GenericPackedTensorAccessorINS6_14TensorAccessorIN3c108ArrayRefIlEET_Lm3ENS5_16DefaultPtrTraitsElEENS_6detail16IndexBoundsCheckILm4ElEESC_Lm4ESD_lEENS7_INS8_ISB_KSC_Lm3ESD_lEESH_SJ_Lm4ESD_lEE,comdat
	.globl	_ZN2at6native12_GLOBAL__N_137upsample_bicubic2d_backward_out_frameIddEEviT0_S3_bN5torch10headeronly6detail27GenericPackedTensorAccessorINS6_14TensorAccessorIN3c108ArrayRefIlEET_Lm3ENS5_16DefaultPtrTraitsElEENS_6detail16IndexBoundsCheckILm4ElEESC_Lm4ESD_lEENS7_INS8_ISB_KSC_Lm3ESD_lEESH_SJ_Lm4ESD_lEE ; -- Begin function _ZN2at6native12_GLOBAL__N_137upsample_bicubic2d_backward_out_frameIddEEviT0_S3_bN5torch10headeronly6detail27GenericPackedTensorAccessorINS6_14TensorAccessorIN3c108ArrayRefIlEET_Lm3ENS5_16DefaultPtrTraitsElEENS_6detail16IndexBoundsCheckILm4ElEESC_Lm4ESD_lEENS7_INS8_ISB_KSC_Lm3ESD_lEESH_SJ_Lm4ESD_lEE
	.p2align	8
	.type	_ZN2at6native12_GLOBAL__N_137upsample_bicubic2d_backward_out_frameIddEEviT0_S3_bN5torch10headeronly6detail27GenericPackedTensorAccessorINS6_14TensorAccessorIN3c108ArrayRefIlEET_Lm3ENS5_16DefaultPtrTraitsElEENS_6detail16IndexBoundsCheckILm4ElEESC_Lm4ESD_lEENS7_INS8_ISB_KSC_Lm3ESD_lEESH_SJ_Lm4ESD_lEE,@function
_ZN2at6native12_GLOBAL__N_137upsample_bicubic2d_backward_out_frameIddEEviT0_S3_bN5torch10headeronly6detail27GenericPackedTensorAccessorINS6_14TensorAccessorIN3c108ArrayRefIlEET_Lm3ENS5_16DefaultPtrTraitsElEENS_6detail16IndexBoundsCheckILm4ElEESC_Lm4ESD_lEENS7_INS8_ISB_KSC_Lm3ESD_lEESH_SJ_Lm4ESD_lEE: ; @_ZN2at6native12_GLOBAL__N_137upsample_bicubic2d_backward_out_frameIddEEviT0_S3_bN5torch10headeronly6detail27GenericPackedTensorAccessorINS6_14TensorAccessorIN3c108ArrayRefIlEET_Lm3ENS5_16DefaultPtrTraitsElEENS_6detail16IndexBoundsCheckILm4ElEESC_Lm4ESD_lEENS7_INS8_ISB_KSC_Lm3ESD_lEESH_SJ_Lm4ESD_lEE
; %bb.0:
	s_load_dword s0, s[4:5], 0xbc
	s_load_dword s1, s[4:5], 0x0
	s_waitcnt lgkmcnt(0)
	s_and_b32 s0, s0, 0xffff
	s_mul_i32 s6, s6, s0
	v_add_u32_e32 v0, s6, v0
	v_cmp_gt_i32_e32 vcc, s1, v0
	s_and_saveexec_b64 s[0:1], vcc
	s_cbranch_execz .LBB8_55
; %bb.1:
	s_load_dwordx4 s[0:3], s[4:5], 0x80
	v_sub_u32_e32 v3, 0, v0
	v_max_i32_e32 v3, v0, v3
	s_load_dwordx8 s[8:15], s[4:5], 0x28
	s_mov_b64 s[6:7], -1
	s_waitcnt lgkmcnt(0)
	s_abs_i32 s3, s2
	v_cvt_f32_u32_e32 v1, s3
	s_sub_i32 s1, 0, s3
	s_cmp_lg_u32 s12, s0
	v_rcp_iflag_f32_e32 v1, v1
	v_mul_f32_e32 v1, 0x4f7ffffe, v1
	v_cvt_u32_f32_e32 v1, v1
	v_mul_lo_u32 v2, s1, v1
	s_cselect_b64 s[0:1], -1, 0
	s_cmp_lg_u32 s14, s2
	v_mul_hi_u32 v2, v1, v2
	v_add_u32_e32 v1, v1, v2
	v_mul_hi_u32 v1, v3, v1
	v_xor_b32_e32 v2, s2, v0
	v_ashrrev_i32_e32 v2, 31, v2
	v_mul_lo_u32 v4, v1, s3
	v_add_u32_e32 v5, 1, v1
	v_sub_u32_e32 v3, v3, v4
	v_cmp_le_u32_e32 vcc, s3, v3
	v_subrev_u32_e32 v4, s3, v3
	v_cndmask_b32_e32 v1, v1, v5, vcc
	v_cndmask_b32_e32 v3, v3, v4, vcc
	v_add_u32_e32 v4, 1, v1
	v_cmp_le_u32_e32 vcc, s3, v3
	v_cndmask_b32_e32 v1, v1, v4, vcc
	v_xor_b32_e32 v1, v1, v2
	v_sub_u32_e32 v45, v1, v2
	v_mul_lo_u32 v1, v45, s2
	s_cselect_b64 s[2:3], -1, 0
	s_or_b64 s[0:1], s[2:3], s[0:1]
	s_and_b64 vcc, exec, s[0:1]
	v_sub_u32_e32 v44, v0, v1
	s_cbranch_vccz .LBB8_49
; %bb.2:
	s_load_dword s6, s[4:5], 0x18
	s_load_dwordx4 s[0:3], s[4:5], 0x8
	v_cvt_f64_i32_e32 v[2:3], v44
	s_mov_b64 s[16:17], -1
                                        ; implicit-def: $vgpr0_vgpr1
	s_waitcnt lgkmcnt(0)
	s_bitcmp1_b32 s6, 0
	s_cselect_b64 s[6:7], -1, 0
	s_xor_b64 s[6:7], s[6:7], -1
	s_and_b64 vcc, exec, s[6:7]
	s_cbranch_vccnz .LBB8_6
; %bb.3:
	s_andn2_b64 vcc, exec, s[16:17]
	s_cbranch_vccz .LBB8_7
.LBB8_4:
	v_cvt_f64_i32_e32 v[4:5], v45
	s_and_b64 vcc, exec, s[6:7]
	s_cbranch_vccz .LBB8_8
.LBB8_5:
	v_add_f64 v[2:3], v[4:5], 0.5
	v_fma_f64 v[2:3], s[0:1], v[2:3], -0.5
	s_cbranch_execz .LBB8_9
	s_branch .LBB8_10
.LBB8_6:
	v_add_f64 v[0:1], v[2:3], 0.5
	v_fma_f64 v[0:1], s[2:3], v[0:1], -0.5
	s_cbranch_execnz .LBB8_4
.LBB8_7:
	v_mul_f64 v[0:1], s[2:3], v[2:3]
	v_cvt_f64_i32_e32 v[4:5], v45
	s_and_b64 vcc, exec, s[6:7]
	s_cbranch_vccnz .LBB8_5
.LBB8_8:
                                        ; implicit-def: $vgpr2_vgpr3
.LBB8_9:
	v_mul_f64 v[2:3], s[0:1], v[4:5]
.LBB8_10:
	s_cmp_lt_i32 s8, 1
	s_cbranch_scc1 .LBB8_48
; %bb.11:
	v_cvt_f32_f64_e32 v6, v[0:1]
	v_cvt_f32_f64_e32 v7, v[2:3]
	s_mov_b32 s6, 0
	s_mov_b32 s7, 0x3ff40000
	v_floor_f32_e32 v6, v6
	v_floor_f32_e32 v7, v7
	v_cvt_i32_f32_e32 v21, v6
	v_cvt_i32_f32_e32 v20, v7
	s_load_dwordx8 s[16:23], s[4:5], 0x90
	v_mov_b32_e32 v4, 0
	v_cvt_f64_i32_e32 v[6:7], v21
	v_cvt_f64_i32_e32 v[8:9], v20
	s_mov_b32 s0, 0
	v_mov_b32_e32 v5, 0x400e0000
	v_add_f64 v[0:1], v[0:1], -v[6:7]
	v_add_f64 v[2:3], v[2:3], -v[8:9]
	v_mov_b32_e32 v6, 0
	v_mov_b32_e32 v7, 0xc0020000
	v_ashrrev_i32_e32 v8, 31, v45
	s_waitcnt lgkmcnt(0)
	v_mul_lo_u32 v38, s20, v8
	s_mov_b32 s1, 0xbfe80000
	s_mov_b32 s2, 0
	v_add_f64 v[12:13], -v[0:1], 1.0
	v_add_f64 v[16:17], -v[2:3], 1.0
	v_fma_f64 v[14:15], v[0:1], s[6:7], v[6:7]
	v_add_f64 v[8:9], v[0:1], 1.0
	v_add_f64 v[10:11], v[2:3], 1.0
	v_fma_f64 v[26:27], v[2:3], s[6:7], v[6:7]
	s_mov_b32 s3, 0xc0180000
	v_mul_lo_u32 v39, s21, v45
	v_add_f64 v[18:19], v[12:13], 1.0
	v_add_f64 v[24:25], v[16:17], 1.0
	v_fma_f64 v[32:33], v[12:13], s[6:7], v[6:7]
	v_mul_f64 v[14:15], v[0:1], v[14:15]
	v_fma_f64 v[6:7], v[16:17], s[6:7], v[6:7]
	v_fma_f64 v[28:29], v[8:9], s[0:1], v[4:5]
	;; [unrolled: 1-line block ×3, first 2 shown]
	v_mul_f64 v[26:27], v[2:3], v[26:27]
	v_fma_f64 v[34:35], v[18:19], s[0:1], v[4:5]
	v_fma_f64 v[36:37], v[24:25], s[0:1], v[4:5]
	v_mad_u64_u32 v[22:23], s[20:21], s20, v45, 0
	v_fma_f64 v[4:5], v[0:1], v[14:15], 1.0
	v_mul_f64 v[0:1], v[16:17], v[6:7]
	v_fma_f64 v[28:29], v[8:9], v[28:29], s[2:3]
	v_fma_f64 v[30:31], v[10:11], v[30:31], s[2:3]
	;; [unrolled: 1-line block ×4, first 2 shown]
	s_mov_b32 s24, 0
	s_mov_b32 s25, 0x40080000
	v_fma_f64 v[6:7], v[2:3], v[26:27], 1.0
	s_load_dwordx2 s[0:1], s[4:5], 0x68
	v_add3_u32 v23, v23, v38, v39
	v_ashrrev_i32_e32 v2, 31, v44
	v_fma_f64 v[14:15], v[18:19], v[34:35], s[24:25]
	v_fma_f64 v[16:17], v[16:17], v[0:1], 1.0
	v_fma_f64 v[18:19], v[24:25], v[36:37], s[24:25]
	v_lshlrev_b64 v[0:1], 3, v[22:23]
	v_mul_lo_u32 v23, s22, v2
	v_mul_lo_u32 v24, s23, v44
	v_mad_u64_u32 v[2:3], s[2:3], s22, v44, 0
	s_waitcnt lgkmcnt(0)
	v_mov_b32_e32 v22, s1
	v_add_co_u32_e32 v25, vcc, s0, v0
	v_add3_u32 v3, v3, v23, v24
	v_fma_f64 v[8:9], v[8:9], v[28:29], s[24:25]
	v_fma_f64 v[10:11], v[10:11], v[30:31], s[24:25]
	v_addc_co_u32_e32 v22, vcc, v22, v1, vcc
	v_lshlrev_b64 v[0:1], 3, v[2:3]
	s_load_dwordx8 s[20:27], s[4:5], 0x48
	s_cmp_gt_i32 s10, 0
	v_add_co_u32_e32 v46, vcc, v25, v0
	s_cselect_b64 s[0:1], -1, 0
	s_add_i32 s6, s12, -1
	v_add_u32_e32 v0, -1, v20
	s_add_i32 s7, s14, -1
	v_add_u32_e32 v2, -1, v21
	v_min_i32_e32 v0, s6, v0
	v_min_i32_e32 v2, s7, v2
	v_addc_co_u32_e32 v47, vcc, v22, v1, vcc
	v_max_i32_e32 v22, 0, v0
	v_max_i32_e32 v24, 0, v2
	s_waitcnt lgkmcnt(0)
	v_mad_u64_u32 v[0:1], s[2:3], s24, v22, 0
	v_mad_u64_u32 v[2:3], s[2:3], s26, v24, 0
	v_mul_f64 v[32:33], v[12:13], v[32:33]
	s_mov_b32 s9, 0
	v_mad_u64_u32 v[22:23], s[2:3], s25, v22, v[1:2]
	v_mov_b32_e32 v1, v3
	v_mad_u64_u32 v[23:24], s[2:3], s27, v24, v[1:2]
	v_min_i32_e32 v1, s7, v21
	v_max_i32_e32 v3, 0, v1
	v_mad_u64_u32 v[30:31], s[2:3], s26, v3, 0
	v_add_u32_e32 v1, 1, v21
	v_min_i32_e32 v1, s7, v1
	v_max_i32_e32 v26, 0, v1
	v_fma_f64 v[12:13], v[12:13], v[32:33], 1.0
	v_mad_u64_u32 v[32:33], s[2:3], s26, v26, 0
	v_mov_b32_e32 v1, v31
	v_mad_u64_u32 v[24:25], s[2:3], s27, v3, v[1:2]
	v_add_u32_e32 v21, 2, v21
	v_mov_b32_e32 v1, v33
	v_min_i32_e32 v21, s7, v21
	v_mad_u64_u32 v[25:26], s[2:3], s27, v26, v[1:2]
	v_mov_b32_e32 v31, v24
	v_max_i32_e32 v24, 0, v21
	v_min_i32_e32 v21, s6, v20
	v_mad_u64_u32 v[34:35], s[2:3], s26, v24, 0
	v_max_i32_e32 v26, 0, v21
	v_mov_b32_e32 v1, v22
	v_mov_b32_e32 v3, v23
	v_mad_u64_u32 v[22:23], s[2:3], s24, v26, 0
	v_mov_b32_e32 v21, v35
	v_mov_b32_e32 v33, v25
	v_mad_u64_u32 v[24:25], s[2:3], s27, v24, v[21:22]
	v_mov_b32_e32 v21, v23
	v_mad_u64_u32 v[25:26], s[2:3], s25, v26, v[21:22]
	v_add_u32_e32 v21, 1, v20
	v_min_i32_e32 v21, s6, v21
	v_max_i32_e32 v21, 0, v21
	v_add_u32_e32 v20, 2, v20
	v_mad_u64_u32 v[26:27], s[2:3], s24, v21, 0
	v_min_i32_e32 v20, s6, v20
	v_max_i32_e32 v23, 0, v20
	v_mad_u64_u32 v[28:29], s[2:3], s24, v23, 0
	v_mov_b32_e32 v20, v27
	v_mad_u64_u32 v[20:21], s[2:3], s25, v21, v[20:21]
	v_mov_b32_e32 v21, v29
	v_mad_u64_u32 v[36:37], s[2:3], s25, v23, v[21:22]
	s_load_dwordx2 s[2:3], s[4:5], 0x20
	v_mov_b32_e32 v35, v24
	v_mov_b32_e32 v23, v25
	;; [unrolled: 1-line block ×4, first 2 shown]
	v_lshlrev_b64 v[20:21], 3, v[0:1]
	v_lshlrev_b64 v[22:23], 3, v[22:23]
	;; [unrolled: 1-line block ×8, first 2 shown]
	s_branch .LBB8_13
.LBB8_12:                               ;   in Loop: Header=BB8_13 Depth=1
	s_add_i32 s9, s9, 1
	s_cmp_eq_u32 s9, s8
	s_cbranch_scc1 .LBB8_48
.LBB8_13:                               ; =>This Loop Header: Depth=1
                                        ;     Child Loop BB8_15 Depth 2
                                        ;       Child Loop BB8_16 Depth 3
                                        ;       Child Loop BB8_18 Depth 3
	;; [unrolled: 1-line block ×16, first 2 shown]
	s_andn2_b64 vcc, exec, s[0:1]
	s_cbranch_vccnz .LBB8_12
; %bb.14:                               ;   in Loop: Header=BB8_13 Depth=1
	s_mul_i32 s6, s17, s9
	s_mul_hi_u32 s7, s16, s9
	s_add_i32 s7, s7, s6
	s_mul_i32 s6, s16, s9
	s_lshl_b64 s[6:7], s[6:7], 3
	v_mov_b32_e32 v0, s7
	v_add_co_u32_e32 v48, vcc, s6, v46
	s_mul_i32 s6, s21, s9
	s_mul_hi_u32 s7, s20, s9
	s_add_i32 s7, s7, s6
	s_mul_i32 s6, s20, s9
	s_lshl_b64 s[6:7], s[6:7], 3
	s_waitcnt lgkmcnt(0)
	s_add_u32 s11, s2, s6
	v_addc_co_u32_e32 v49, vcc, v47, v0, vcc
	s_addc_u32 s12, s3, s7
	s_mov_b32 s13, 0
.LBB8_15:                               ;   Parent Loop BB8_13 Depth=1
                                        ; =>  This Loop Header: Depth=2
                                        ;       Child Loop BB8_16 Depth 3
                                        ;       Child Loop BB8_18 Depth 3
	;; [unrolled: 1-line block ×16, first 2 shown]
	s_mul_i32 s6, s19, s13
	s_mul_hi_u32 s7, s18, s13
	s_add_i32 s7, s7, s6
	s_mul_i32 s6, s18, s13
	s_lshl_b64 s[6:7], s[6:7], 3
	v_mov_b32_e32 v1, s7
	v_add_co_u32_e32 v0, vcc, s6, v48
	v_addc_co_u32_e32 v1, vcc, v49, v1, vcc
	global_load_dwordx2 v[36:37], v[0:1], off
	s_mul_i32 s6, s23, s13
	s_mul_hi_u32 s7, s22, s13
	s_add_i32 s7, s7, s6
	s_mul_i32 s6, s22, s13
	s_lshl_b64 s[6:7], s[6:7], 3
	s_add_u32 s14, s11, s6
	s_addc_u32 s15, s12, s7
	v_mov_b32_e32 v0, s15
	v_add_co_u32_e32 v50, vcc, s14, v20
	v_addc_co_u32_e32 v51, vcc, v0, v21, vcc
	v_add_co_u32_e32 v40, vcc, v50, v28
	v_addc_co_u32_e32 v41, vcc, v51, v29, vcc
	global_load_dwordx2 v[2:3], v[40:41], off
	s_mov_b64 s[6:7], 0
	s_waitcnt vmcnt(1)
	v_mul_f64 v[38:39], v[36:37], v[10:11]
	v_mul_f64 v[42:43], v[38:39], v[8:9]
.LBB8_16:                               ;   Parent Loop BB8_13 Depth=1
                                        ;     Parent Loop BB8_15 Depth=2
                                        ; =>    This Inner Loop Header: Depth=3
	s_waitcnt vmcnt(0)
	v_add_f64 v[0:1], v[2:3], v[42:43]
	global_atomic_cmpswap_x2 v[0:1], v[40:41], v[0:3], off glc
	s_waitcnt vmcnt(0)
	v_cmp_eq_u64_e32 vcc, v[0:1], v[2:3]
	v_mov_b32_e32 v3, v1
	s_or_b64 s[6:7], vcc, s[6:7]
	v_mov_b32_e32 v2, v0
	s_andn2_b64 exec, exec, s[6:7]
	s_cbranch_execnz .LBB8_16
; %bb.17:                               ;   in Loop: Header=BB8_15 Depth=2
	s_or_b64 exec, exec, s[6:7]
	v_add_co_u32_e32 v40, vcc, v50, v30
	v_addc_co_u32_e32 v41, vcc, v51, v31, vcc
	global_load_dwordx2 v[2:3], v[40:41], off
	v_mul_f64 v[42:43], v[38:39], v[4:5]
	s_mov_b64 s[6:7], 0
.LBB8_18:                               ;   Parent Loop BB8_13 Depth=1
                                        ;     Parent Loop BB8_15 Depth=2
                                        ; =>    This Inner Loop Header: Depth=3
	s_waitcnt vmcnt(0)
	v_add_f64 v[0:1], v[2:3], v[42:43]
	global_atomic_cmpswap_x2 v[0:1], v[40:41], v[0:3], off glc
	s_waitcnt vmcnt(0)
	v_cmp_eq_u64_e32 vcc, v[0:1], v[2:3]
	v_mov_b32_e32 v3, v1
	s_or_b64 s[6:7], vcc, s[6:7]
	v_mov_b32_e32 v2, v0
	s_andn2_b64 exec, exec, s[6:7]
	s_cbranch_execnz .LBB8_18
; %bb.19:                               ;   in Loop: Header=BB8_15 Depth=2
	s_or_b64 exec, exec, s[6:7]
	v_add_co_u32_e32 v40, vcc, v50, v32
	v_addc_co_u32_e32 v41, vcc, v51, v33, vcc
	global_load_dwordx2 v[2:3], v[40:41], off
	v_mul_f64 v[42:43], v[38:39], v[12:13]
	s_mov_b64 s[6:7], 0
	;; [unrolled: 20-line block ×3, first 2 shown]
.LBB8_22:                               ;   Parent Loop BB8_13 Depth=1
                                        ;     Parent Loop BB8_15 Depth=2
                                        ; =>    This Inner Loop Header: Depth=3
	s_waitcnt vmcnt(0)
	v_add_f64 v[0:1], v[2:3], v[38:39]
	global_atomic_cmpswap_x2 v[0:1], v[40:41], v[0:3], off glc
	s_waitcnt vmcnt(0)
	v_cmp_eq_u64_e32 vcc, v[0:1], v[2:3]
	v_mov_b32_e32 v3, v1
	s_or_b64 s[6:7], vcc, s[6:7]
	v_mov_b32_e32 v2, v0
	s_andn2_b64 exec, exec, s[6:7]
	s_cbranch_execnz .LBB8_22
; %bb.23:                               ;   in Loop: Header=BB8_15 Depth=2
	s_or_b64 exec, exec, s[6:7]
	v_mov_b32_e32 v0, s15
	v_add_co_u32_e32 v50, vcc, s14, v22
	v_addc_co_u32_e32 v51, vcc, v0, v23, vcc
	v_add_co_u32_e32 v40, vcc, v50, v28
	v_addc_co_u32_e32 v41, vcc, v51, v29, vcc
	global_load_dwordx2 v[2:3], v[40:41], off
	v_mul_f64 v[38:39], v[36:37], v[6:7]
	s_mov_b64 s[6:7], 0
	v_mul_f64 v[42:43], v[38:39], v[8:9]
.LBB8_24:                               ;   Parent Loop BB8_13 Depth=1
                                        ;     Parent Loop BB8_15 Depth=2
                                        ; =>    This Inner Loop Header: Depth=3
	s_waitcnt vmcnt(0)
	v_add_f64 v[0:1], v[2:3], v[42:43]
	global_atomic_cmpswap_x2 v[0:1], v[40:41], v[0:3], off glc
	s_waitcnt vmcnt(0)
	v_cmp_eq_u64_e32 vcc, v[0:1], v[2:3]
	v_mov_b32_e32 v3, v1
	s_or_b64 s[6:7], vcc, s[6:7]
	v_mov_b32_e32 v2, v0
	s_andn2_b64 exec, exec, s[6:7]
	s_cbranch_execnz .LBB8_24
; %bb.25:                               ;   in Loop: Header=BB8_15 Depth=2
	s_or_b64 exec, exec, s[6:7]
	v_add_co_u32_e32 v40, vcc, v50, v30
	v_addc_co_u32_e32 v41, vcc, v51, v31, vcc
	global_load_dwordx2 v[2:3], v[40:41], off
	v_mul_f64 v[42:43], v[38:39], v[4:5]
	s_mov_b64 s[6:7], 0
.LBB8_26:                               ;   Parent Loop BB8_13 Depth=1
                                        ;     Parent Loop BB8_15 Depth=2
                                        ; =>    This Inner Loop Header: Depth=3
	s_waitcnt vmcnt(0)
	v_add_f64 v[0:1], v[2:3], v[42:43]
	global_atomic_cmpswap_x2 v[0:1], v[40:41], v[0:3], off glc
	s_waitcnt vmcnt(0)
	v_cmp_eq_u64_e32 vcc, v[0:1], v[2:3]
	v_mov_b32_e32 v3, v1
	s_or_b64 s[6:7], vcc, s[6:7]
	v_mov_b32_e32 v2, v0
	s_andn2_b64 exec, exec, s[6:7]
	s_cbranch_execnz .LBB8_26
; %bb.27:                               ;   in Loop: Header=BB8_15 Depth=2
	s_or_b64 exec, exec, s[6:7]
	v_add_co_u32_e32 v40, vcc, v50, v32
	v_addc_co_u32_e32 v41, vcc, v51, v33, vcc
	global_load_dwordx2 v[2:3], v[40:41], off
	v_mul_f64 v[42:43], v[38:39], v[12:13]
	s_mov_b64 s[6:7], 0
.LBB8_28:                               ;   Parent Loop BB8_13 Depth=1
                                        ;     Parent Loop BB8_15 Depth=2
                                        ; =>    This Inner Loop Header: Depth=3
	s_waitcnt vmcnt(0)
	v_add_f64 v[0:1], v[2:3], v[42:43]
	global_atomic_cmpswap_x2 v[0:1], v[40:41], v[0:3], off glc
	s_waitcnt vmcnt(0)
	v_cmp_eq_u64_e32 vcc, v[0:1], v[2:3]
	v_mov_b32_e32 v3, v1
	s_or_b64 s[6:7], vcc, s[6:7]
	v_mov_b32_e32 v2, v0
	s_andn2_b64 exec, exec, s[6:7]
	s_cbranch_execnz .LBB8_28
; %bb.29:                               ;   in Loop: Header=BB8_15 Depth=2
	s_or_b64 exec, exec, s[6:7]
	v_add_co_u32_e32 v40, vcc, v50, v34
	v_addc_co_u32_e32 v41, vcc, v51, v35, vcc
	global_load_dwordx2 v[2:3], v[40:41], off
	v_mul_f64 v[38:39], v[38:39], v[14:15]
	s_mov_b64 s[6:7], 0
.LBB8_30:                               ;   Parent Loop BB8_13 Depth=1
                                        ;     Parent Loop BB8_15 Depth=2
                                        ; =>    This Inner Loop Header: Depth=3
	s_waitcnt vmcnt(0)
	v_add_f64 v[0:1], v[2:3], v[38:39]
	global_atomic_cmpswap_x2 v[0:1], v[40:41], v[0:3], off glc
	s_waitcnt vmcnt(0)
	v_cmp_eq_u64_e32 vcc, v[0:1], v[2:3]
	v_mov_b32_e32 v3, v1
	s_or_b64 s[6:7], vcc, s[6:7]
	v_mov_b32_e32 v2, v0
	s_andn2_b64 exec, exec, s[6:7]
	s_cbranch_execnz .LBB8_30
; %bb.31:                               ;   in Loop: Header=BB8_15 Depth=2
	s_or_b64 exec, exec, s[6:7]
	v_mov_b32_e32 v0, s15
	v_add_co_u32_e32 v50, vcc, s14, v24
	v_addc_co_u32_e32 v51, vcc, v0, v25, vcc
	v_add_co_u32_e32 v40, vcc, v50, v28
	v_addc_co_u32_e32 v41, vcc, v51, v29, vcc
	global_load_dwordx2 v[2:3], v[40:41], off
	v_mul_f64 v[38:39], v[36:37], v[16:17]
	s_mov_b64 s[6:7], 0
	v_mul_f64 v[42:43], v[38:39], v[8:9]
.LBB8_32:                               ;   Parent Loop BB8_13 Depth=1
                                        ;     Parent Loop BB8_15 Depth=2
                                        ; =>    This Inner Loop Header: Depth=3
	s_waitcnt vmcnt(0)
	v_add_f64 v[0:1], v[2:3], v[42:43]
	global_atomic_cmpswap_x2 v[0:1], v[40:41], v[0:3], off glc
	s_waitcnt vmcnt(0)
	v_cmp_eq_u64_e32 vcc, v[0:1], v[2:3]
	v_mov_b32_e32 v3, v1
	s_or_b64 s[6:7], vcc, s[6:7]
	v_mov_b32_e32 v2, v0
	s_andn2_b64 exec, exec, s[6:7]
	s_cbranch_execnz .LBB8_32
; %bb.33:                               ;   in Loop: Header=BB8_15 Depth=2
	s_or_b64 exec, exec, s[6:7]
	v_add_co_u32_e32 v40, vcc, v50, v30
	v_addc_co_u32_e32 v41, vcc, v51, v31, vcc
	global_load_dwordx2 v[2:3], v[40:41], off
	v_mul_f64 v[42:43], v[38:39], v[4:5]
	s_mov_b64 s[6:7], 0
.LBB8_34:                               ;   Parent Loop BB8_13 Depth=1
                                        ;     Parent Loop BB8_15 Depth=2
                                        ; =>    This Inner Loop Header: Depth=3
	s_waitcnt vmcnt(0)
	v_add_f64 v[0:1], v[2:3], v[42:43]
	global_atomic_cmpswap_x2 v[0:1], v[40:41], v[0:3], off glc
	s_waitcnt vmcnt(0)
	v_cmp_eq_u64_e32 vcc, v[0:1], v[2:3]
	v_mov_b32_e32 v3, v1
	s_or_b64 s[6:7], vcc, s[6:7]
	v_mov_b32_e32 v2, v0
	s_andn2_b64 exec, exec, s[6:7]
	s_cbranch_execnz .LBB8_34
; %bb.35:                               ;   in Loop: Header=BB8_15 Depth=2
	s_or_b64 exec, exec, s[6:7]
	v_add_co_u32_e32 v40, vcc, v50, v32
	v_addc_co_u32_e32 v41, vcc, v51, v33, vcc
	global_load_dwordx2 v[2:3], v[40:41], off
	v_mul_f64 v[42:43], v[38:39], v[12:13]
	s_mov_b64 s[6:7], 0
.LBB8_36:                               ;   Parent Loop BB8_13 Depth=1
                                        ;     Parent Loop BB8_15 Depth=2
                                        ; =>    This Inner Loop Header: Depth=3
	s_waitcnt vmcnt(0)
	v_add_f64 v[0:1], v[2:3], v[42:43]
	global_atomic_cmpswap_x2 v[0:1], v[40:41], v[0:3], off glc
	s_waitcnt vmcnt(0)
	v_cmp_eq_u64_e32 vcc, v[0:1], v[2:3]
	v_mov_b32_e32 v3, v1
	s_or_b64 s[6:7], vcc, s[6:7]
	v_mov_b32_e32 v2, v0
	s_andn2_b64 exec, exec, s[6:7]
	s_cbranch_execnz .LBB8_36
; %bb.37:                               ;   in Loop: Header=BB8_15 Depth=2
	s_or_b64 exec, exec, s[6:7]
	v_add_co_u32_e32 v40, vcc, v50, v34
	v_addc_co_u32_e32 v41, vcc, v51, v35, vcc
	global_load_dwordx2 v[2:3], v[40:41], off
	v_mul_f64 v[38:39], v[38:39], v[14:15]
	s_mov_b64 s[6:7], 0
.LBB8_38:                               ;   Parent Loop BB8_13 Depth=1
                                        ;     Parent Loop BB8_15 Depth=2
                                        ; =>    This Inner Loop Header: Depth=3
	s_waitcnt vmcnt(0)
	v_add_f64 v[0:1], v[2:3], v[38:39]
	global_atomic_cmpswap_x2 v[0:1], v[40:41], v[0:3], off glc
	s_waitcnt vmcnt(0)
	v_cmp_eq_u64_e32 vcc, v[0:1], v[2:3]
	v_mov_b32_e32 v3, v1
	s_or_b64 s[6:7], vcc, s[6:7]
	v_mov_b32_e32 v2, v0
	s_andn2_b64 exec, exec, s[6:7]
	s_cbranch_execnz .LBB8_38
; %bb.39:                               ;   in Loop: Header=BB8_15 Depth=2
	s_or_b64 exec, exec, s[6:7]
	v_mov_b32_e32 v0, s15
	v_add_co_u32_e32 v42, vcc, s14, v26
	v_addc_co_u32_e32 v43, vcc, v0, v27, vcc
	v_add_co_u32_e32 v38, vcc, v42, v28
	v_addc_co_u32_e32 v39, vcc, v43, v29, vcc
	global_load_dwordx2 v[2:3], v[38:39], off
	v_mul_f64 v[36:37], v[36:37], v[18:19]
	s_mov_b64 s[6:7], 0
	v_mul_f64 v[40:41], v[36:37], v[8:9]
.LBB8_40:                               ;   Parent Loop BB8_13 Depth=1
                                        ;     Parent Loop BB8_15 Depth=2
                                        ; =>    This Inner Loop Header: Depth=3
	s_waitcnt vmcnt(0)
	v_add_f64 v[0:1], v[2:3], v[40:41]
	global_atomic_cmpswap_x2 v[0:1], v[38:39], v[0:3], off glc
	s_waitcnt vmcnt(0)
	v_cmp_eq_u64_e32 vcc, v[0:1], v[2:3]
	v_mov_b32_e32 v3, v1
	s_or_b64 s[6:7], vcc, s[6:7]
	v_mov_b32_e32 v2, v0
	s_andn2_b64 exec, exec, s[6:7]
	s_cbranch_execnz .LBB8_40
; %bb.41:                               ;   in Loop: Header=BB8_15 Depth=2
	s_or_b64 exec, exec, s[6:7]
	v_add_co_u32_e32 v38, vcc, v42, v30
	v_addc_co_u32_e32 v39, vcc, v43, v31, vcc
	global_load_dwordx2 v[2:3], v[38:39], off
	v_mul_f64 v[40:41], v[36:37], v[4:5]
	s_mov_b64 s[6:7], 0
.LBB8_42:                               ;   Parent Loop BB8_13 Depth=1
                                        ;     Parent Loop BB8_15 Depth=2
                                        ; =>    This Inner Loop Header: Depth=3
	s_waitcnt vmcnt(0)
	v_add_f64 v[0:1], v[2:3], v[40:41]
	global_atomic_cmpswap_x2 v[0:1], v[38:39], v[0:3], off glc
	s_waitcnt vmcnt(0)
	v_cmp_eq_u64_e32 vcc, v[0:1], v[2:3]
	v_mov_b32_e32 v3, v1
	s_or_b64 s[6:7], vcc, s[6:7]
	v_mov_b32_e32 v2, v0
	s_andn2_b64 exec, exec, s[6:7]
	s_cbranch_execnz .LBB8_42
; %bb.43:                               ;   in Loop: Header=BB8_15 Depth=2
	s_or_b64 exec, exec, s[6:7]
	v_add_co_u32_e32 v38, vcc, v42, v32
	v_addc_co_u32_e32 v39, vcc, v43, v33, vcc
	global_load_dwordx2 v[2:3], v[38:39], off
	v_mul_f64 v[40:41], v[36:37], v[12:13]
	s_mov_b64 s[6:7], 0
	;; [unrolled: 20-line block ×3, first 2 shown]
.LBB8_46:                               ;   Parent Loop BB8_13 Depth=1
                                        ;     Parent Loop BB8_15 Depth=2
                                        ; =>    This Inner Loop Header: Depth=3
	s_waitcnt vmcnt(0)
	v_add_f64 v[0:1], v[2:3], v[36:37]
	global_atomic_cmpswap_x2 v[0:1], v[38:39], v[0:3], off glc
	s_waitcnt vmcnt(0)
	v_cmp_eq_u64_e32 vcc, v[0:1], v[2:3]
	v_mov_b32_e32 v3, v1
	s_or_b64 s[6:7], vcc, s[6:7]
	v_mov_b32_e32 v2, v0
	s_andn2_b64 exec, exec, s[6:7]
	s_cbranch_execnz .LBB8_46
; %bb.47:                               ;   in Loop: Header=BB8_15 Depth=2
	s_or_b64 exec, exec, s[6:7]
	s_add_i32 s13, s13, 1
	s_cmp_eq_u32 s13, s10
	s_cbranch_scc0 .LBB8_15
	s_branch .LBB8_12
.LBB8_48:
	s_mov_b64 s[6:7], 0
.LBB8_49:
	s_and_b64 vcc, exec, s[6:7]
	s_cbranch_vccz .LBB8_55
; %bb.50:
	s_cmp_lt_i32 s8, 1
	s_cbranch_scc1 .LBB8_55
; %bb.51:
	s_load_dwordx8 s[12:19], s[4:5], 0x90
	v_ashrrev_i32_e32 v4, 31, v45
	v_ashrrev_i32_e32 v6, 31, v44
	s_cmp_gt_i32 s10, 0
	s_cselect_b64 s[0:1], -1, 0
	s_waitcnt lgkmcnt(0)
	v_mul_lo_u32 v2, s17, v45
	v_mul_lo_u32 v3, s16, v4
	v_mad_u64_u32 v[0:1], s[2:3], s16, v45, 0
	s_load_dwordx2 s[2:3], s[4:5], 0x68
	s_load_dwordx2 s[6:7], s[4:5], 0x20
	s_load_dwordx8 s[20:27], s[4:5], 0x48
	v_mul_lo_u32 v7, s19, v44
	v_add3_u32 v1, v1, v3, v2
	v_mul_lo_u32 v8, s18, v6
	v_mad_u64_u32 v[2:3], s[4:5], s18, v44, 0
	v_lshlrev_b64 v[0:1], 3, v[0:1]
	s_waitcnt lgkmcnt(0)
	v_mov_b32_e32 v5, s3
	v_add_co_u32_e32 v9, vcc, s2, v0
	v_add3_u32 v3, v3, v8, v7
	v_addc_co_u32_e32 v5, vcc, v5, v1, vcc
	v_lshlrev_b64 v[0:1], 3, v[2:3]
	v_mul_lo_u32 v7, s25, v45
	v_mul_lo_u32 v4, s24, v4
	v_mad_u64_u32 v[2:3], s[2:3], s24, v45, 0
	v_add_co_u32_e32 v0, vcc, v9, v0
	v_addc_co_u32_e32 v1, vcc, v5, v1, vcc
	v_add3_u32 v3, v3, v4, v7
	v_mul_lo_u32 v8, s27, v44
	v_mul_lo_u32 v6, s26, v6
	v_mad_u64_u32 v[4:5], s[2:3], s26, v44, 0
	v_lshlrev_b64 v[2:3], 3, v[2:3]
	v_mov_b32_e32 v7, s7
	v_add_co_u32_e32 v9, vcc, s6, v2
	v_add3_u32 v5, v5, v6, v8
	v_addc_co_u32_e32 v7, vcc, v7, v3, vcc
	v_lshlrev_b64 v[2:3], 3, v[4:5]
	v_cndmask_b32_e64 v4, 0, 1, s[0:1]
	v_add_co_u32_e32 v2, vcc, v9, v2
	s_mov_b32 s9, 0
	v_addc_co_u32_e32 v3, vcc, v7, v3, vcc
	s_lshl_b64 s[2:3], s[20:21], 3
	s_lshl_b64 s[4:5], s[22:23], 3
	s_lshl_b64 s[6:7], s[12:13], 3
	s_lshl_b64 s[12:13], s[14:15], 3
	v_cmp_ne_u32_e64 s[0:1], 1, v4
	s_branch .LBB8_53
.LBB8_52:                               ;   in Loop: Header=BB8_53 Depth=1
	v_mov_b32_e32 v4, s3
	v_add_co_u32_e32 v2, vcc, s2, v2
	v_addc_co_u32_e32 v3, vcc, v3, v4, vcc
	s_add_i32 s9, s9, 1
	v_mov_b32_e32 v4, s7
	v_add_co_u32_e32 v0, vcc, s6, v0
	s_cmp_eq_u32 s9, s8
	v_addc_co_u32_e32 v1, vcc, v1, v4, vcc
	s_cbranch_scc1 .LBB8_55
.LBB8_53:                               ; =>This Loop Header: Depth=1
                                        ;     Child Loop BB8_54 Depth 2
	v_mov_b32_e32 v5, v1
	v_mov_b32_e32 v7, v3
	s_and_b64 vcc, exec, s[0:1]
	v_mov_b32_e32 v4, v0
	v_mov_b32_e32 v6, v2
	s_mov_b32 s11, s10
	s_cbranch_vccnz .LBB8_52
.LBB8_54:                               ;   Parent Loop BB8_53 Depth=1
                                        ; =>  This Inner Loop Header: Depth=2
	global_load_dwordx2 v[8:9], v[4:5], off
	v_mov_b32_e32 v11, s13
	v_add_co_u32_e32 v4, vcc, s12, v4
	v_addc_co_u32_e32 v5, vcc, v5, v11, vcc
	s_add_i32 s11, s11, -1
	v_mov_b32_e32 v10, s5
	s_cmp_eq_u32 s11, 0
	s_waitcnt vmcnt(0)
	global_store_dwordx2 v[6:7], v[8:9], off
	v_add_co_u32_e32 v6, vcc, s4, v6
	v_addc_co_u32_e32 v7, vcc, v7, v10, vcc
	s_cbranch_scc0 .LBB8_54
	s_branch .LBB8_52
.LBB8_55:
	s_endpgm
	.section	.rodata,"a",@progbits
	.p2align	6, 0x0
	.amdhsa_kernel _ZN2at6native12_GLOBAL__N_137upsample_bicubic2d_backward_out_frameIddEEviT0_S3_bN5torch10headeronly6detail27GenericPackedTensorAccessorINS6_14TensorAccessorIN3c108ArrayRefIlEET_Lm3ENS5_16DefaultPtrTraitsElEENS_6detail16IndexBoundsCheckILm4ElEESC_Lm4ESD_lEENS7_INS8_ISB_KSC_Lm3ESD_lEESH_SJ_Lm4ESD_lEE
		.amdhsa_group_segment_fixed_size 0
		.amdhsa_private_segment_fixed_size 0
		.amdhsa_kernarg_size 432
		.amdhsa_user_sgpr_count 6
		.amdhsa_user_sgpr_private_segment_buffer 1
		.amdhsa_user_sgpr_dispatch_ptr 0
		.amdhsa_user_sgpr_queue_ptr 0
		.amdhsa_user_sgpr_kernarg_segment_ptr 1
		.amdhsa_user_sgpr_dispatch_id 0
		.amdhsa_user_sgpr_flat_scratch_init 0
		.amdhsa_user_sgpr_private_segment_size 0
		.amdhsa_uses_dynamic_stack 0
		.amdhsa_system_sgpr_private_segment_wavefront_offset 0
		.amdhsa_system_sgpr_workgroup_id_x 1
		.amdhsa_system_sgpr_workgroup_id_y 0
		.amdhsa_system_sgpr_workgroup_id_z 0
		.amdhsa_system_sgpr_workgroup_info 0
		.amdhsa_system_vgpr_workitem_id 0
		.amdhsa_next_free_vgpr 52
		.amdhsa_next_free_sgpr 28
		.amdhsa_reserve_vcc 1
		.amdhsa_reserve_flat_scratch 0
		.amdhsa_float_round_mode_32 0
		.amdhsa_float_round_mode_16_64 0
		.amdhsa_float_denorm_mode_32 3
		.amdhsa_float_denorm_mode_16_64 3
		.amdhsa_dx10_clamp 1
		.amdhsa_ieee_mode 1
		.amdhsa_fp16_overflow 0
		.amdhsa_exception_fp_ieee_invalid_op 0
		.amdhsa_exception_fp_denorm_src 0
		.amdhsa_exception_fp_ieee_div_zero 0
		.amdhsa_exception_fp_ieee_overflow 0
		.amdhsa_exception_fp_ieee_underflow 0
		.amdhsa_exception_fp_ieee_inexact 0
		.amdhsa_exception_int_div_zero 0
	.end_amdhsa_kernel
	.section	.text._ZN2at6native12_GLOBAL__N_137upsample_bicubic2d_backward_out_frameIddEEviT0_S3_bN5torch10headeronly6detail27GenericPackedTensorAccessorINS6_14TensorAccessorIN3c108ArrayRefIlEET_Lm3ENS5_16DefaultPtrTraitsElEENS_6detail16IndexBoundsCheckILm4ElEESC_Lm4ESD_lEENS7_INS8_ISB_KSC_Lm3ESD_lEESH_SJ_Lm4ESD_lEE,"axG",@progbits,_ZN2at6native12_GLOBAL__N_137upsample_bicubic2d_backward_out_frameIddEEviT0_S3_bN5torch10headeronly6detail27GenericPackedTensorAccessorINS6_14TensorAccessorIN3c108ArrayRefIlEET_Lm3ENS5_16DefaultPtrTraitsElEENS_6detail16IndexBoundsCheckILm4ElEESC_Lm4ESD_lEENS7_INS8_ISB_KSC_Lm3ESD_lEESH_SJ_Lm4ESD_lEE,comdat
.Lfunc_end8:
	.size	_ZN2at6native12_GLOBAL__N_137upsample_bicubic2d_backward_out_frameIddEEviT0_S3_bN5torch10headeronly6detail27GenericPackedTensorAccessorINS6_14TensorAccessorIN3c108ArrayRefIlEET_Lm3ENS5_16DefaultPtrTraitsElEENS_6detail16IndexBoundsCheckILm4ElEESC_Lm4ESD_lEENS7_INS8_ISB_KSC_Lm3ESD_lEESH_SJ_Lm4ESD_lEE, .Lfunc_end8-_ZN2at6native12_GLOBAL__N_137upsample_bicubic2d_backward_out_frameIddEEviT0_S3_bN5torch10headeronly6detail27GenericPackedTensorAccessorINS6_14TensorAccessorIN3c108ArrayRefIlEET_Lm3ENS5_16DefaultPtrTraitsElEENS_6detail16IndexBoundsCheckILm4ElEESC_Lm4ESD_lEENS7_INS8_ISB_KSC_Lm3ESD_lEESH_SJ_Lm4ESD_lEE
                                        ; -- End function
	.set _ZN2at6native12_GLOBAL__N_137upsample_bicubic2d_backward_out_frameIddEEviT0_S3_bN5torch10headeronly6detail27GenericPackedTensorAccessorINS6_14TensorAccessorIN3c108ArrayRefIlEET_Lm3ENS5_16DefaultPtrTraitsElEENS_6detail16IndexBoundsCheckILm4ElEESC_Lm4ESD_lEENS7_INS8_ISB_KSC_Lm3ESD_lEESH_SJ_Lm4ESD_lEE.num_vgpr, 52
	.set _ZN2at6native12_GLOBAL__N_137upsample_bicubic2d_backward_out_frameIddEEviT0_S3_bN5torch10headeronly6detail27GenericPackedTensorAccessorINS6_14TensorAccessorIN3c108ArrayRefIlEET_Lm3ENS5_16DefaultPtrTraitsElEENS_6detail16IndexBoundsCheckILm4ElEESC_Lm4ESD_lEENS7_INS8_ISB_KSC_Lm3ESD_lEESH_SJ_Lm4ESD_lEE.num_agpr, 0
	.set _ZN2at6native12_GLOBAL__N_137upsample_bicubic2d_backward_out_frameIddEEviT0_S3_bN5torch10headeronly6detail27GenericPackedTensorAccessorINS6_14TensorAccessorIN3c108ArrayRefIlEET_Lm3ENS5_16DefaultPtrTraitsElEENS_6detail16IndexBoundsCheckILm4ElEESC_Lm4ESD_lEENS7_INS8_ISB_KSC_Lm3ESD_lEESH_SJ_Lm4ESD_lEE.numbered_sgpr, 28
	.set _ZN2at6native12_GLOBAL__N_137upsample_bicubic2d_backward_out_frameIddEEviT0_S3_bN5torch10headeronly6detail27GenericPackedTensorAccessorINS6_14TensorAccessorIN3c108ArrayRefIlEET_Lm3ENS5_16DefaultPtrTraitsElEENS_6detail16IndexBoundsCheckILm4ElEESC_Lm4ESD_lEENS7_INS8_ISB_KSC_Lm3ESD_lEESH_SJ_Lm4ESD_lEE.num_named_barrier, 0
	.set _ZN2at6native12_GLOBAL__N_137upsample_bicubic2d_backward_out_frameIddEEviT0_S3_bN5torch10headeronly6detail27GenericPackedTensorAccessorINS6_14TensorAccessorIN3c108ArrayRefIlEET_Lm3ENS5_16DefaultPtrTraitsElEENS_6detail16IndexBoundsCheckILm4ElEESC_Lm4ESD_lEENS7_INS8_ISB_KSC_Lm3ESD_lEESH_SJ_Lm4ESD_lEE.private_seg_size, 0
	.set _ZN2at6native12_GLOBAL__N_137upsample_bicubic2d_backward_out_frameIddEEviT0_S3_bN5torch10headeronly6detail27GenericPackedTensorAccessorINS6_14TensorAccessorIN3c108ArrayRefIlEET_Lm3ENS5_16DefaultPtrTraitsElEENS_6detail16IndexBoundsCheckILm4ElEESC_Lm4ESD_lEENS7_INS8_ISB_KSC_Lm3ESD_lEESH_SJ_Lm4ESD_lEE.uses_vcc, 1
	.set _ZN2at6native12_GLOBAL__N_137upsample_bicubic2d_backward_out_frameIddEEviT0_S3_bN5torch10headeronly6detail27GenericPackedTensorAccessorINS6_14TensorAccessorIN3c108ArrayRefIlEET_Lm3ENS5_16DefaultPtrTraitsElEENS_6detail16IndexBoundsCheckILm4ElEESC_Lm4ESD_lEENS7_INS8_ISB_KSC_Lm3ESD_lEESH_SJ_Lm4ESD_lEE.uses_flat_scratch, 0
	.set _ZN2at6native12_GLOBAL__N_137upsample_bicubic2d_backward_out_frameIddEEviT0_S3_bN5torch10headeronly6detail27GenericPackedTensorAccessorINS6_14TensorAccessorIN3c108ArrayRefIlEET_Lm3ENS5_16DefaultPtrTraitsElEENS_6detail16IndexBoundsCheckILm4ElEESC_Lm4ESD_lEENS7_INS8_ISB_KSC_Lm3ESD_lEESH_SJ_Lm4ESD_lEE.has_dyn_sized_stack, 0
	.set _ZN2at6native12_GLOBAL__N_137upsample_bicubic2d_backward_out_frameIddEEviT0_S3_bN5torch10headeronly6detail27GenericPackedTensorAccessorINS6_14TensorAccessorIN3c108ArrayRefIlEET_Lm3ENS5_16DefaultPtrTraitsElEENS_6detail16IndexBoundsCheckILm4ElEESC_Lm4ESD_lEENS7_INS8_ISB_KSC_Lm3ESD_lEESH_SJ_Lm4ESD_lEE.has_recursion, 0
	.set _ZN2at6native12_GLOBAL__N_137upsample_bicubic2d_backward_out_frameIddEEviT0_S3_bN5torch10headeronly6detail27GenericPackedTensorAccessorINS6_14TensorAccessorIN3c108ArrayRefIlEET_Lm3ENS5_16DefaultPtrTraitsElEENS_6detail16IndexBoundsCheckILm4ElEESC_Lm4ESD_lEENS7_INS8_ISB_KSC_Lm3ESD_lEESH_SJ_Lm4ESD_lEE.has_indirect_call, 0
	.section	.AMDGPU.csdata,"",@progbits
; Kernel info:
; codeLenInByte = 3240
; TotalNumSgprs: 32
; NumVgprs: 52
; ScratchSize: 0
; MemoryBound: 0
; FloatMode: 240
; IeeeMode: 1
; LDSByteSize: 0 bytes/workgroup (compile time only)
; SGPRBlocks: 3
; VGPRBlocks: 12
; NumSGPRsForWavesPerEU: 32
; NumVGPRsForWavesPerEU: 52
; Occupancy: 4
; WaveLimiterHint : 1
; COMPUTE_PGM_RSRC2:SCRATCH_EN: 0
; COMPUTE_PGM_RSRC2:USER_SGPR: 6
; COMPUTE_PGM_RSRC2:TRAP_HANDLER: 0
; COMPUTE_PGM_RSRC2:TGID_X_EN: 1
; COMPUTE_PGM_RSRC2:TGID_Y_EN: 0
; COMPUTE_PGM_RSRC2:TGID_Z_EN: 0
; COMPUTE_PGM_RSRC2:TIDIG_COMP_CNT: 0
	.section	.text._ZN2at6native12_GLOBAL__N_137upsample_bicubic2d_backward_out_frameIffEEviT0_S3_bN5torch10headeronly6detail27GenericPackedTensorAccessorINS6_14TensorAccessorIN3c108ArrayRefIlEET_Lm3ENS5_16DefaultPtrTraitsElEENS_6detail16IndexBoundsCheckILm4ElEESC_Lm4ESD_lEENS7_INS8_ISB_KSC_Lm3ESD_lEESH_SJ_Lm4ESD_lEE,"axG",@progbits,_ZN2at6native12_GLOBAL__N_137upsample_bicubic2d_backward_out_frameIffEEviT0_S3_bN5torch10headeronly6detail27GenericPackedTensorAccessorINS6_14TensorAccessorIN3c108ArrayRefIlEET_Lm3ENS5_16DefaultPtrTraitsElEENS_6detail16IndexBoundsCheckILm4ElEESC_Lm4ESD_lEENS7_INS8_ISB_KSC_Lm3ESD_lEESH_SJ_Lm4ESD_lEE,comdat
	.globl	_ZN2at6native12_GLOBAL__N_137upsample_bicubic2d_backward_out_frameIffEEviT0_S3_bN5torch10headeronly6detail27GenericPackedTensorAccessorINS6_14TensorAccessorIN3c108ArrayRefIlEET_Lm3ENS5_16DefaultPtrTraitsElEENS_6detail16IndexBoundsCheckILm4ElEESC_Lm4ESD_lEENS7_INS8_ISB_KSC_Lm3ESD_lEESH_SJ_Lm4ESD_lEE ; -- Begin function _ZN2at6native12_GLOBAL__N_137upsample_bicubic2d_backward_out_frameIffEEviT0_S3_bN5torch10headeronly6detail27GenericPackedTensorAccessorINS6_14TensorAccessorIN3c108ArrayRefIlEET_Lm3ENS5_16DefaultPtrTraitsElEENS_6detail16IndexBoundsCheckILm4ElEESC_Lm4ESD_lEENS7_INS8_ISB_KSC_Lm3ESD_lEESH_SJ_Lm4ESD_lEE
	.p2align	8
	.type	_ZN2at6native12_GLOBAL__N_137upsample_bicubic2d_backward_out_frameIffEEviT0_S3_bN5torch10headeronly6detail27GenericPackedTensorAccessorINS6_14TensorAccessorIN3c108ArrayRefIlEET_Lm3ENS5_16DefaultPtrTraitsElEENS_6detail16IndexBoundsCheckILm4ElEESC_Lm4ESD_lEENS7_INS8_ISB_KSC_Lm3ESD_lEESH_SJ_Lm4ESD_lEE,@function
_ZN2at6native12_GLOBAL__N_137upsample_bicubic2d_backward_out_frameIffEEviT0_S3_bN5torch10headeronly6detail27GenericPackedTensorAccessorINS6_14TensorAccessorIN3c108ArrayRefIlEET_Lm3ENS5_16DefaultPtrTraitsElEENS_6detail16IndexBoundsCheckILm4ElEESC_Lm4ESD_lEENS7_INS8_ISB_KSC_Lm3ESD_lEESH_SJ_Lm4ESD_lEE: ; @_ZN2at6native12_GLOBAL__N_137upsample_bicubic2d_backward_out_frameIffEEviT0_S3_bN5torch10headeronly6detail27GenericPackedTensorAccessorINS6_14TensorAccessorIN3c108ArrayRefIlEET_Lm3ENS5_16DefaultPtrTraitsElEENS_6detail16IndexBoundsCheckILm4ElEESC_Lm4ESD_lEENS7_INS8_ISB_KSC_Lm3ESD_lEESH_SJ_Lm4ESD_lEE
; %bb.0:
	s_load_dword s7, s[4:5], 0xac
	s_load_dwordx4 s[0:3], s[4:5], 0x0
	s_waitcnt lgkmcnt(0)
	s_and_b32 s7, s7, 0xffff
	s_mul_i32 s6, s6, s7
	v_add_u32_e32 v0, s6, v0
	v_cmp_gt_i32_e32 vcc, s0, v0
	s_and_saveexec_b64 s[6:7], vcc
	s_cbranch_execz .LBB9_47
; %bb.1:
	s_load_dwordx4 s[16:19], s[4:5], 0x70
	v_sub_u32_e32 v3, 0, v0
	v_max_i32_e32 v3, v0, v3
	s_load_dwordx8 s[8:15], s[4:5], 0x18
	s_waitcnt lgkmcnt(0)
	s_abs_i32 s0, s18
	v_cvt_f32_u32_e32 v1, s0
	s_sub_i32 s6, 0, s0
	s_cmp_lg_u32 s12, s16
	s_cselect_b64 s[16:17], -1, 0
	v_rcp_iflag_f32_e32 v1, v1
	s_cmp_lg_u32 s14, s18
	v_mul_f32_e32 v1, 0x4f7ffffe, v1
	v_cvt_u32_f32_e32 v1, v1
	v_mul_lo_u32 v2, s6, v1
	s_mov_b64 s[6:7], -1
	v_mul_hi_u32 v2, v1, v2
	v_add_u32_e32 v1, v1, v2
	v_mul_hi_u32 v1, v3, v1
	v_xor_b32_e32 v2, s18, v0
	v_ashrrev_i32_e32 v2, 31, v2
	v_mul_lo_u32 v4, v1, s0
	v_add_u32_e32 v5, 1, v1
	v_sub_u32_e32 v3, v3, v4
	v_cmp_le_u32_e32 vcc, s0, v3
	v_subrev_u32_e32 v4, s0, v3
	v_cndmask_b32_e32 v1, v1, v5, vcc
	v_cndmask_b32_e32 v3, v3, v4, vcc
	v_add_u32_e32 v4, 1, v1
	v_cmp_le_u32_e32 vcc, s0, v3
	v_cndmask_b32_e32 v1, v1, v4, vcc
	v_xor_b32_e32 v1, v1, v2
	v_sub_u32_e32 v21, v1, v2
	v_mul_lo_u32 v1, v21, s18
	s_cselect_b64 s[18:19], -1, 0
	s_or_b64 s[16:17], s[18:19], s[16:17]
	s_and_b64 vcc, exec, s[16:17]
	v_sub_u32_e32 v20, v0, v1
	s_cbranch_vccz .LBB9_41
; %bb.2:
	s_cmp_lt_i32 s8, 1
	s_cbranch_scc1 .LBB9_40
; %bb.3:
	v_cvt_f32_i32_e32 v0, v20
	s_bitcmp1_b32 s3, 0
	v_cvt_f32_i32_e32 v1, v21
	s_cselect_b64 vcc, -1, 0
	v_mul_f32_e32 v2, s2, v0
	v_add_f32_e32 v0, 0.5, v0
	v_fma_f32 v0, s2, v0, -0.5
	v_cndmask_b32_e32 v0, v0, v2, vcc
	v_floor_f32_e32 v2, v0
	v_cvt_i32_f32_e32 v5, v2
	v_mul_f32_e32 v2, s1, v1
	v_add_f32_e32 v1, 0.5, v1
	v_fma_f32 v1, s1, v1, -0.5
	v_cndmask_b32_e32 v2, v1, v2, vcc
	v_floor_f32_e32 v1, v2
	v_cvt_i32_f32_e32 v3, v1
	v_cvt_f32_i32_e32 v1, v5
	v_mov_b32_e32 v7, 0xc0c00000
	v_mov_b32_e32 v22, 0x40400000
	v_cvt_f32_i32_e32 v4, v3
	v_sub_f32_e32 v1, v0, v1
	v_mov_b32_e32 v8, 0x40700000
	s_load_dwordx8 s[16:23], s[4:5], 0x80
	v_sub_f32_e32 v0, v2, v4
	v_add_f32_e32 v2, 1.0, v1
	v_mov_b32_e32 v4, 0x40700000
	v_fmac_f32_e32 v4, 0xbf400000, v2
	v_fma_f32 v4, v2, v4, v7
	v_fma_f32 v23, v2, v4, v22
	v_sub_f32_e32 v2, 1.0, v1
	v_add_f32_e32 v4, 1.0, v2
	v_fmac_f32_e32 v8, 0xbf400000, v4
	v_fma_f32 v8, v4, v8, v7
	v_fma_f32 v24, v4, v8, v22
	v_add_f32_e32 v4, 1.0, v0
	v_mov_b32_e32 v8, 0x40700000
	v_fmac_f32_e32 v8, 0xbf400000, v4
	v_fma_f32 v8, v4, v8, v7
	v_fma_f32 v25, v4, v8, v22
	v_sub_f32_e32 v4, 1.0, v0
	v_mov_b32_e32 v6, 0x40700000
	v_add_f32_e32 v8, 1.0, v4
	v_fmac_f32_e32 v6, 0xbf400000, v8
	v_fmac_f32_e32 v7, v8, v6
	v_ashrrev_i32_e32 v6, 31, v21
	s_load_dwordx8 s[24:31], s[4:5], 0x38
	v_fmac_f32_e32 v22, v8, v7
	s_cmp_gt_i32 s10, 0
	s_waitcnt lgkmcnt(0)
	v_mul_lo_u32 v8, s21, v21
	v_mul_lo_u32 v9, s20, v6
	v_mad_u64_u32 v[6:7], s[0:1], s20, v21, 0
	s_cselect_b64 s[0:1], -1, 0
	v_add_u32_e32 v10, -1, v3
	s_add_i32 s9, s12, -1
	v_min_i32_e32 v10, s9, v10
	s_load_dwordx2 s[2:3], s[4:5], 0x58
	v_max_i32_e32 v15, 0, v10
	v_add3_u32 v7, v7, v9, v8
	v_ashrrev_i32_e32 v8, 31, v20
	v_mad_u64_u32 v[10:11], s[6:7], s28, v15, 0
	v_mul_lo_u32 v13, s23, v20
	v_mul_lo_u32 v14, s22, v8
	v_mad_u64_u32 v[8:9], s[6:7], s22, v20, 0
	v_lshlrev_b64 v[6:7], 2, v[6:7]
	s_waitcnt lgkmcnt(0)
	v_mov_b32_e32 v12, s3
	v_add_co_u32_e32 v16, vcc, s2, v6
	v_mov_b32_e32 v6, v11
	v_addc_co_u32_e32 v17, vcc, v12, v7, vcc
	v_add3_u32 v9, v9, v14, v13
	v_mad_u64_u32 v[6:7], s[2:3], s29, v15, v[6:7]
	v_lshlrev_b64 v[7:8], 2, v[8:9]
	v_add_u32_e32 v9, -1, v5
	s_add_i32 s6, s14, -1
	v_min_i32_e32 v9, s6, v9
	v_max_i32_e32 v9, 0, v9
	v_mad_u64_u32 v[12:13], s[2:3], s30, v9, 0
	v_add_co_u32_e32 v26, vcc, v16, v7
	v_mov_b32_e32 v7, v13
	v_addc_co_u32_e32 v27, vcc, v17, v8, vcc
	v_mad_u64_u32 v[7:8], s[2:3], s31, v9, v[7:8]
	v_min_i32_e32 v8, s6, v5
	v_max_i32_e32 v9, 0, v8
	v_mad_u64_u32 v[14:15], s[2:3], s30, v9, 0
	v_add_u32_e32 v8, 1, v5
	v_min_i32_e32 v8, s6, v8
	v_max_i32_e32 v11, 0, v8
	v_mad_u64_u32 v[16:17], s[2:3], s30, v11, 0
	v_mov_b32_e32 v8, v15
	v_mad_u64_u32 v[8:9], s[2:3], s31, v9, v[8:9]
	v_add_u32_e32 v5, 2, v5
	v_mov_b32_e32 v9, v17
	v_min_i32_e32 v5, s6, v5
	v_mad_u64_u32 v[17:18], s[2:3], s31, v11, v[9:10]
	v_mov_b32_e32 v15, v8
	v_max_i32_e32 v8, 0, v5
	v_mad_u64_u32 v[18:19], s[2:3], s30, v8, 0
	v_min_i32_e32 v5, s9, v3
	v_mov_b32_e32 v13, v7
	v_max_i32_e32 v9, 0, v5
	v_mov_b32_e32 v7, v19
	v_mov_b32_e32 v11, v6
	v_mad_u64_u32 v[5:6], s[2:3], s28, v9, 0
	v_mad_u64_u32 v[7:8], s[2:3], s31, v8, v[7:8]
	;; [unrolled: 1-line block ×3, first 2 shown]
	v_add_u32_e32 v6, 1, v3
	v_min_i32_e32 v6, s9, v6
	v_add_u32_e32 v3, 2, v3
	v_max_i32_e32 v6, 0, v6
	v_min_i32_e32 v3, s9, v3
	v_mad_u64_u32 v[32:33], s[2:3], s28, v6, 0
	v_max_i32_e32 v9, 0, v3
	v_mad_u64_u32 v[34:35], s[2:3], s28, v9, 0
	v_mov_b32_e32 v3, v33
	v_mad_u64_u32 v[28:29], s[2:3], s29, v6, v[3:4]
	v_mov_b32_e32 v3, v35
	;; [unrolled: 2-line block ×3, first 2 shown]
	v_fmac_f32_e32 v3, 0x3fa00000, v1
	v_mul_f32_e32 v3, v1, v3
	v_mov_b32_e32 v33, v28
	v_fma_f32 v28, v1, v3, 1.0
	v_mov_b32_e32 v1, 0xc0100000
	v_fmac_f32_e32 v1, 0x3fa00000, v2
	v_mul_f32_e32 v1, v2, v1
	v_mov_b32_e32 v35, v29
	v_fma_f32 v29, v2, v1, 1.0
	v_mov_b32_e32 v1, 0xc0100000
	v_fmac_f32_e32 v1, 0x3fa00000, v0
	v_mul_f32_e32 v1, v0, v1
	v_fma_f32 v30, v0, v1, 1.0
	v_mov_b32_e32 v0, 0xc0100000
	s_load_dwordx2 s[2:3], s[4:5], 0x10
	v_fmac_f32_e32 v0, 0x3fa00000, v4
	v_mov_b32_e32 v19, v7
	v_mov_b32_e32 v6, v8
	v_mul_f32_e32 v0, v4, v0
	v_fma_f32 v31, v4, v0, 1.0
	v_lshlrev_b64 v[0:1], 2, v[10:11]
	v_lshlrev_b64 v[2:3], 2, v[5:6]
	;; [unrolled: 1-line block ×8, first 2 shown]
	s_mov_b32 s9, 0
	s_branch .LBB9_5
.LBB9_4:                                ;   in Loop: Header=BB9_5 Depth=1
	s_add_i32 s9, s9, 1
	s_cmp_eq_u32 s9, s8
	s_cbranch_scc1 .LBB9_40
.LBB9_5:                                ; =>This Loop Header: Depth=1
                                        ;     Child Loop BB9_7 Depth 2
                                        ;       Child Loop BB9_8 Depth 3
                                        ;       Child Loop BB9_10 Depth 3
	;; [unrolled: 1-line block ×16, first 2 shown]
	s_andn2_b64 vcc, exec, s[0:1]
	s_cbranch_vccnz .LBB9_4
; %bb.6:                                ;   in Loop: Header=BB9_5 Depth=1
	s_mul_i32 s6, s17, s9
	s_mul_hi_u32 s7, s16, s9
	s_add_i32 s7, s7, s6
	s_mul_i32 s6, s16, s9
	s_lshl_b64 s[6:7], s[6:7], 2
	v_mov_b32_e32 v16, s7
	v_add_co_u32_e32 v32, vcc, s6, v26
	s_mul_i32 s6, s25, s9
	s_mul_hi_u32 s7, s24, s9
	s_add_i32 s7, s7, s6
	s_mul_i32 s6, s24, s9
	s_lshl_b64 s[6:7], s[6:7], 2
	s_waitcnt lgkmcnt(0)
	s_add_u32 s11, s2, s6
	v_addc_co_u32_e32 v33, vcc, v27, v16, vcc
	s_addc_u32 s12, s3, s7
	s_mov_b32 s13, 0
.LBB9_7:                                ;   Parent Loop BB9_5 Depth=1
                                        ; =>  This Loop Header: Depth=2
                                        ;       Child Loop BB9_8 Depth 3
                                        ;       Child Loop BB9_10 Depth 3
	;; [unrolled: 1-line block ×16, first 2 shown]
	s_mul_i32 s6, s19, s13
	s_mul_hi_u32 s7, s18, s13
	s_add_i32 s7, s7, s6
	s_mul_i32 s6, s18, s13
	s_lshl_b64 s[6:7], s[6:7], 2
	v_mov_b32_e32 v17, s7
	v_add_co_u32_e32 v16, vcc, s6, v32
	s_mul_i32 s6, s27, s13
	s_mul_hi_u32 s7, s26, s13
	s_add_i32 s7, s7, s6
	s_mul_i32 s6, s26, s13
	s_lshl_b64 s[6:7], s[6:7], 2
	s_add_u32 s14, s11, s6
	v_addc_co_u32_e32 v17, vcc, v33, v17, vcc
	s_addc_u32 s15, s12, s7
	global_load_dword v34, v[16:17], off
	v_mov_b32_e32 v16, s15
	v_add_co_u32_e32 v35, vcc, s14, v0
	v_addc_co_u32_e32 v36, vcc, v16, v1, vcc
	v_add_co_u32_e32 v16, vcc, v35, v8
	v_addc_co_u32_e32 v17, vcc, v36, v9, vcc
	global_load_dword v19, v[16:17], off
	s_mov_b64 s[6:7], 0
	s_waitcnt vmcnt(1)
	v_mul_f32_e32 v37, v34, v25
	v_mul_f32_e32 v38, v37, v23
.LBB9_8:                                ;   Parent Loop BB9_5 Depth=1
                                        ;     Parent Loop BB9_7 Depth=2
                                        ; =>    This Inner Loop Header: Depth=3
	s_waitcnt vmcnt(0)
	v_add_f32_e32 v18, v19, v38
	global_atomic_cmpswap v18, v[16:17], v[18:19], off glc
	s_waitcnt vmcnt(0)
	v_cmp_eq_u32_e32 vcc, v18, v19
	s_or_b64 s[6:7], vcc, s[6:7]
	v_mov_b32_e32 v19, v18
	s_andn2_b64 exec, exec, s[6:7]
	s_cbranch_execnz .LBB9_8
; %bb.9:                                ;   in Loop: Header=BB9_7 Depth=2
	s_or_b64 exec, exec, s[6:7]
	v_add_co_u32_e32 v16, vcc, v35, v10
	v_addc_co_u32_e32 v17, vcc, v36, v11, vcc
	global_load_dword v19, v[16:17], off
	v_mul_f32_e32 v38, v37, v28
	s_mov_b64 s[6:7], 0
.LBB9_10:                               ;   Parent Loop BB9_5 Depth=1
                                        ;     Parent Loop BB9_7 Depth=2
                                        ; =>    This Inner Loop Header: Depth=3
	s_waitcnt vmcnt(0)
	v_add_f32_e32 v18, v19, v38
	global_atomic_cmpswap v18, v[16:17], v[18:19], off glc
	s_waitcnt vmcnt(0)
	v_cmp_eq_u32_e32 vcc, v18, v19
	s_or_b64 s[6:7], vcc, s[6:7]
	v_mov_b32_e32 v19, v18
	s_andn2_b64 exec, exec, s[6:7]
	s_cbranch_execnz .LBB9_10
; %bb.11:                               ;   in Loop: Header=BB9_7 Depth=2
	s_or_b64 exec, exec, s[6:7]
	v_add_co_u32_e32 v16, vcc, v35, v12
	v_addc_co_u32_e32 v17, vcc, v36, v13, vcc
	global_load_dword v19, v[16:17], off
	v_mul_f32_e32 v38, v37, v29
	s_mov_b64 s[6:7], 0
.LBB9_12:                               ;   Parent Loop BB9_5 Depth=1
                                        ;     Parent Loop BB9_7 Depth=2
                                        ; =>    This Inner Loop Header: Depth=3
	s_waitcnt vmcnt(0)
	v_add_f32_e32 v18, v19, v38
	global_atomic_cmpswap v18, v[16:17], v[18:19], off glc
	s_waitcnt vmcnt(0)
	v_cmp_eq_u32_e32 vcc, v18, v19
	s_or_b64 s[6:7], vcc, s[6:7]
	v_mov_b32_e32 v19, v18
	s_andn2_b64 exec, exec, s[6:7]
	s_cbranch_execnz .LBB9_12
; %bb.13:                               ;   in Loop: Header=BB9_7 Depth=2
	;; [unrolled: 19-line block ×3, first 2 shown]
	s_or_b64 exec, exec, s[6:7]
	v_mov_b32_e32 v16, s15
	v_add_co_u32_e32 v35, vcc, s14, v2
	v_addc_co_u32_e32 v36, vcc, v16, v3, vcc
	v_add_co_u32_e32 v16, vcc, v35, v8
	v_addc_co_u32_e32 v17, vcc, v36, v9, vcc
	global_load_dword v19, v[16:17], off
	v_mul_f32_e32 v37, v34, v30
	v_mul_f32_e32 v38, v37, v23
	s_mov_b64 s[6:7], 0
.LBB9_16:                               ;   Parent Loop BB9_5 Depth=1
                                        ;     Parent Loop BB9_7 Depth=2
                                        ; =>    This Inner Loop Header: Depth=3
	s_waitcnt vmcnt(0)
	v_add_f32_e32 v18, v19, v38
	global_atomic_cmpswap v18, v[16:17], v[18:19], off glc
	s_waitcnt vmcnt(0)
	v_cmp_eq_u32_e32 vcc, v18, v19
	s_or_b64 s[6:7], vcc, s[6:7]
	v_mov_b32_e32 v19, v18
	s_andn2_b64 exec, exec, s[6:7]
	s_cbranch_execnz .LBB9_16
; %bb.17:                               ;   in Loop: Header=BB9_7 Depth=2
	s_or_b64 exec, exec, s[6:7]
	v_add_co_u32_e32 v16, vcc, v35, v10
	v_addc_co_u32_e32 v17, vcc, v36, v11, vcc
	global_load_dword v19, v[16:17], off
	v_mul_f32_e32 v38, v37, v28
	s_mov_b64 s[6:7], 0
.LBB9_18:                               ;   Parent Loop BB9_5 Depth=1
                                        ;     Parent Loop BB9_7 Depth=2
                                        ; =>    This Inner Loop Header: Depth=3
	s_waitcnt vmcnt(0)
	v_add_f32_e32 v18, v19, v38
	global_atomic_cmpswap v18, v[16:17], v[18:19], off glc
	s_waitcnt vmcnt(0)
	v_cmp_eq_u32_e32 vcc, v18, v19
	s_or_b64 s[6:7], vcc, s[6:7]
	v_mov_b32_e32 v19, v18
	s_andn2_b64 exec, exec, s[6:7]
	s_cbranch_execnz .LBB9_18
; %bb.19:                               ;   in Loop: Header=BB9_7 Depth=2
	s_or_b64 exec, exec, s[6:7]
	v_add_co_u32_e32 v16, vcc, v35, v12
	v_addc_co_u32_e32 v17, vcc, v36, v13, vcc
	global_load_dword v19, v[16:17], off
	;; [unrolled: 19-line block ×3, first 2 shown]
	v_mul_f32_e32 v35, v37, v24
	s_mov_b64 s[6:7], 0
.LBB9_22:                               ;   Parent Loop BB9_5 Depth=1
                                        ;     Parent Loop BB9_7 Depth=2
                                        ; =>    This Inner Loop Header: Depth=3
	s_waitcnt vmcnt(0)
	v_add_f32_e32 v18, v19, v35
	global_atomic_cmpswap v18, v[16:17], v[18:19], off glc
	s_waitcnt vmcnt(0)
	v_cmp_eq_u32_e32 vcc, v18, v19
	s_or_b64 s[6:7], vcc, s[6:7]
	v_mov_b32_e32 v19, v18
	s_andn2_b64 exec, exec, s[6:7]
	s_cbranch_execnz .LBB9_22
; %bb.23:                               ;   in Loop: Header=BB9_7 Depth=2
	s_or_b64 exec, exec, s[6:7]
	v_mov_b32_e32 v16, s15
	v_add_co_u32_e32 v35, vcc, s14, v4
	v_addc_co_u32_e32 v36, vcc, v16, v5, vcc
	v_add_co_u32_e32 v16, vcc, v35, v8
	v_addc_co_u32_e32 v17, vcc, v36, v9, vcc
	global_load_dword v19, v[16:17], off
	v_mul_f32_e32 v37, v34, v31
	v_mul_f32_e32 v38, v37, v23
	s_mov_b64 s[6:7], 0
.LBB9_24:                               ;   Parent Loop BB9_5 Depth=1
                                        ;     Parent Loop BB9_7 Depth=2
                                        ; =>    This Inner Loop Header: Depth=3
	s_waitcnt vmcnt(0)
	v_add_f32_e32 v18, v19, v38
	global_atomic_cmpswap v18, v[16:17], v[18:19], off glc
	s_waitcnt vmcnt(0)
	v_cmp_eq_u32_e32 vcc, v18, v19
	s_or_b64 s[6:7], vcc, s[6:7]
	v_mov_b32_e32 v19, v18
	s_andn2_b64 exec, exec, s[6:7]
	s_cbranch_execnz .LBB9_24
; %bb.25:                               ;   in Loop: Header=BB9_7 Depth=2
	s_or_b64 exec, exec, s[6:7]
	v_add_co_u32_e32 v16, vcc, v35, v10
	v_addc_co_u32_e32 v17, vcc, v36, v11, vcc
	global_load_dword v19, v[16:17], off
	v_mul_f32_e32 v38, v37, v28
	s_mov_b64 s[6:7], 0
.LBB9_26:                               ;   Parent Loop BB9_5 Depth=1
                                        ;     Parent Loop BB9_7 Depth=2
                                        ; =>    This Inner Loop Header: Depth=3
	s_waitcnt vmcnt(0)
	v_add_f32_e32 v18, v19, v38
	global_atomic_cmpswap v18, v[16:17], v[18:19], off glc
	s_waitcnt vmcnt(0)
	v_cmp_eq_u32_e32 vcc, v18, v19
	s_or_b64 s[6:7], vcc, s[6:7]
	v_mov_b32_e32 v19, v18
	s_andn2_b64 exec, exec, s[6:7]
	s_cbranch_execnz .LBB9_26
; %bb.27:                               ;   in Loop: Header=BB9_7 Depth=2
	s_or_b64 exec, exec, s[6:7]
	v_add_co_u32_e32 v16, vcc, v35, v12
	v_addc_co_u32_e32 v17, vcc, v36, v13, vcc
	global_load_dword v19, v[16:17], off
	;; [unrolled: 19-line block ×3, first 2 shown]
	v_mul_f32_e32 v35, v37, v24
	s_mov_b64 s[6:7], 0
.LBB9_30:                               ;   Parent Loop BB9_5 Depth=1
                                        ;     Parent Loop BB9_7 Depth=2
                                        ; =>    This Inner Loop Header: Depth=3
	s_waitcnt vmcnt(0)
	v_add_f32_e32 v18, v19, v35
	global_atomic_cmpswap v18, v[16:17], v[18:19], off glc
	s_waitcnt vmcnt(0)
	v_cmp_eq_u32_e32 vcc, v18, v19
	s_or_b64 s[6:7], vcc, s[6:7]
	v_mov_b32_e32 v19, v18
	s_andn2_b64 exec, exec, s[6:7]
	s_cbranch_execnz .LBB9_30
; %bb.31:                               ;   in Loop: Header=BB9_7 Depth=2
	s_or_b64 exec, exec, s[6:7]
	v_mov_b32_e32 v16, s15
	v_add_co_u32_e32 v35, vcc, s14, v6
	v_addc_co_u32_e32 v36, vcc, v16, v7, vcc
	v_add_co_u32_e32 v16, vcc, v35, v8
	v_addc_co_u32_e32 v17, vcc, v36, v9, vcc
	global_load_dword v19, v[16:17], off
	v_mul_f32_e32 v34, v34, v22
	v_mul_f32_e32 v37, v34, v23
	s_mov_b64 s[6:7], 0
.LBB9_32:                               ;   Parent Loop BB9_5 Depth=1
                                        ;     Parent Loop BB9_7 Depth=2
                                        ; =>    This Inner Loop Header: Depth=3
	s_waitcnt vmcnt(0)
	v_add_f32_e32 v18, v19, v37
	global_atomic_cmpswap v18, v[16:17], v[18:19], off glc
	s_waitcnt vmcnt(0)
	v_cmp_eq_u32_e32 vcc, v18, v19
	s_or_b64 s[6:7], vcc, s[6:7]
	v_mov_b32_e32 v19, v18
	s_andn2_b64 exec, exec, s[6:7]
	s_cbranch_execnz .LBB9_32
; %bb.33:                               ;   in Loop: Header=BB9_7 Depth=2
	s_or_b64 exec, exec, s[6:7]
	v_add_co_u32_e32 v16, vcc, v35, v10
	v_addc_co_u32_e32 v17, vcc, v36, v11, vcc
	global_load_dword v19, v[16:17], off
	v_mul_f32_e32 v37, v34, v28
	s_mov_b64 s[6:7], 0
.LBB9_34:                               ;   Parent Loop BB9_5 Depth=1
                                        ;     Parent Loop BB9_7 Depth=2
                                        ; =>    This Inner Loop Header: Depth=3
	s_waitcnt vmcnt(0)
	v_add_f32_e32 v18, v19, v37
	global_atomic_cmpswap v18, v[16:17], v[18:19], off glc
	s_waitcnt vmcnt(0)
	v_cmp_eq_u32_e32 vcc, v18, v19
	s_or_b64 s[6:7], vcc, s[6:7]
	v_mov_b32_e32 v19, v18
	s_andn2_b64 exec, exec, s[6:7]
	s_cbranch_execnz .LBB9_34
; %bb.35:                               ;   in Loop: Header=BB9_7 Depth=2
	s_or_b64 exec, exec, s[6:7]
	v_add_co_u32_e32 v16, vcc, v35, v12
	v_addc_co_u32_e32 v17, vcc, v36, v13, vcc
	global_load_dword v19, v[16:17], off
	;; [unrolled: 19-line block ×3, first 2 shown]
	v_mul_f32_e32 v34, v34, v24
	s_mov_b64 s[6:7], 0
.LBB9_38:                               ;   Parent Loop BB9_5 Depth=1
                                        ;     Parent Loop BB9_7 Depth=2
                                        ; =>    This Inner Loop Header: Depth=3
	s_waitcnt vmcnt(0)
	v_add_f32_e32 v18, v19, v34
	global_atomic_cmpswap v18, v[16:17], v[18:19], off glc
	s_waitcnt vmcnt(0)
	v_cmp_eq_u32_e32 vcc, v18, v19
	s_or_b64 s[6:7], vcc, s[6:7]
	v_mov_b32_e32 v19, v18
	s_andn2_b64 exec, exec, s[6:7]
	s_cbranch_execnz .LBB9_38
; %bb.39:                               ;   in Loop: Header=BB9_7 Depth=2
	s_or_b64 exec, exec, s[6:7]
	s_add_i32 s13, s13, 1
	s_cmp_eq_u32 s13, s10
	s_cbranch_scc0 .LBB9_7
	s_branch .LBB9_4
.LBB9_40:
	s_mov_b64 s[6:7], 0
.LBB9_41:
	s_andn2_b64 vcc, exec, s[6:7]
	s_cbranch_vccnz .LBB9_47
; %bb.42:
	s_cmp_lt_i32 s8, 1
	s_cbranch_scc1 .LBB9_47
; %bb.43:
	s_load_dwordx8 s[12:19], s[4:5], 0x80
	v_ashrrev_i32_e32 v4, 31, v21
	v_ashrrev_i32_e32 v6, 31, v20
	s_cmp_gt_i32 s10, 0
	s_cselect_b64 s[0:1], -1, 0
	s_waitcnt lgkmcnt(0)
	v_mul_lo_u32 v2, s17, v21
	v_mul_lo_u32 v3, s16, v4
	v_mad_u64_u32 v[0:1], s[2:3], s16, v21, 0
	s_load_dwordx2 s[2:3], s[4:5], 0x58
	s_load_dwordx2 s[6:7], s[4:5], 0x10
	s_load_dwordx8 s[20:27], s[4:5], 0x38
	v_mul_lo_u32 v7, s19, v20
	v_add3_u32 v1, v1, v3, v2
	v_mul_lo_u32 v8, s18, v6
	v_mad_u64_u32 v[2:3], s[4:5], s18, v20, 0
	v_lshlrev_b64 v[0:1], 2, v[0:1]
	s_waitcnt lgkmcnt(0)
	v_mov_b32_e32 v5, s3
	v_add_co_u32_e32 v9, vcc, s2, v0
	v_add3_u32 v3, v3, v8, v7
	v_addc_co_u32_e32 v5, vcc, v5, v1, vcc
	v_lshlrev_b64 v[0:1], 2, v[2:3]
	v_mul_lo_u32 v7, s25, v21
	v_mul_lo_u32 v4, s24, v4
	v_mad_u64_u32 v[2:3], s[2:3], s24, v21, 0
	v_add_co_u32_e32 v0, vcc, v9, v0
	v_addc_co_u32_e32 v1, vcc, v5, v1, vcc
	v_add3_u32 v3, v3, v4, v7
	v_mul_lo_u32 v8, s27, v20
	v_mul_lo_u32 v6, s26, v6
	v_mad_u64_u32 v[4:5], s[2:3], s26, v20, 0
	v_lshlrev_b64 v[2:3], 2, v[2:3]
	v_mov_b32_e32 v7, s7
	v_add_co_u32_e32 v9, vcc, s6, v2
	v_add3_u32 v5, v5, v6, v8
	v_addc_co_u32_e32 v7, vcc, v7, v3, vcc
	v_lshlrev_b64 v[2:3], 2, v[4:5]
	v_cndmask_b32_e64 v4, 0, 1, s[0:1]
	v_add_co_u32_e32 v2, vcc, v9, v2
	s_mov_b32 s9, 0
	v_addc_co_u32_e32 v3, vcc, v7, v3, vcc
	s_lshl_b64 s[2:3], s[20:21], 2
	s_lshl_b64 s[4:5], s[22:23], 2
	;; [unrolled: 1-line block ×4, first 2 shown]
	v_cmp_ne_u32_e64 s[0:1], 1, v4
	s_branch .LBB9_45
.LBB9_44:                               ;   in Loop: Header=BB9_45 Depth=1
	v_mov_b32_e32 v4, s3
	v_add_co_u32_e32 v2, vcc, s2, v2
	v_addc_co_u32_e32 v3, vcc, v3, v4, vcc
	s_add_i32 s9, s9, 1
	v_mov_b32_e32 v4, s7
	v_add_co_u32_e32 v0, vcc, s6, v0
	s_cmp_eq_u32 s9, s8
	v_addc_co_u32_e32 v1, vcc, v1, v4, vcc
	s_cbranch_scc1 .LBB9_47
.LBB9_45:                               ; =>This Loop Header: Depth=1
                                        ;     Child Loop BB9_46 Depth 2
	v_mov_b32_e32 v5, v1
	v_mov_b32_e32 v7, v3
	s_and_b64 vcc, exec, s[0:1]
	v_mov_b32_e32 v4, v0
	v_mov_b32_e32 v6, v2
	s_mov_b32 s11, s10
	s_cbranch_vccnz .LBB9_44
.LBB9_46:                               ;   Parent Loop BB9_45 Depth=1
                                        ; =>  This Inner Loop Header: Depth=2
	global_load_dword v8, v[4:5], off
	v_mov_b32_e32 v10, s13
	v_add_co_u32_e32 v4, vcc, s12, v4
	v_addc_co_u32_e32 v5, vcc, v5, v10, vcc
	s_add_i32 s11, s11, -1
	v_mov_b32_e32 v9, s5
	s_cmp_eq_u32 s11, 0
	s_waitcnt vmcnt(0)
	global_store_dword v[6:7], v8, off
	v_add_co_u32_e32 v6, vcc, s4, v6
	v_addc_co_u32_e32 v7, vcc, v7, v9, vcc
	s_cbranch_scc0 .LBB9_46
	s_branch .LBB9_44
.LBB9_47:
	s_endpgm
	.section	.rodata,"a",@progbits
	.p2align	6, 0x0
	.amdhsa_kernel _ZN2at6native12_GLOBAL__N_137upsample_bicubic2d_backward_out_frameIffEEviT0_S3_bN5torch10headeronly6detail27GenericPackedTensorAccessorINS6_14TensorAccessorIN3c108ArrayRefIlEET_Lm3ENS5_16DefaultPtrTraitsElEENS_6detail16IndexBoundsCheckILm4ElEESC_Lm4ESD_lEENS7_INS8_ISB_KSC_Lm3ESD_lEESH_SJ_Lm4ESD_lEE
		.amdhsa_group_segment_fixed_size 0
		.amdhsa_private_segment_fixed_size 0
		.amdhsa_kernarg_size 416
		.amdhsa_user_sgpr_count 6
		.amdhsa_user_sgpr_private_segment_buffer 1
		.amdhsa_user_sgpr_dispatch_ptr 0
		.amdhsa_user_sgpr_queue_ptr 0
		.amdhsa_user_sgpr_kernarg_segment_ptr 1
		.amdhsa_user_sgpr_dispatch_id 0
		.amdhsa_user_sgpr_flat_scratch_init 0
		.amdhsa_user_sgpr_private_segment_size 0
		.amdhsa_uses_dynamic_stack 0
		.amdhsa_system_sgpr_private_segment_wavefront_offset 0
		.amdhsa_system_sgpr_workgroup_id_x 1
		.amdhsa_system_sgpr_workgroup_id_y 0
		.amdhsa_system_sgpr_workgroup_id_z 0
		.amdhsa_system_sgpr_workgroup_info 0
		.amdhsa_system_vgpr_workitem_id 0
		.amdhsa_next_free_vgpr 39
		.amdhsa_next_free_sgpr 32
		.amdhsa_reserve_vcc 1
		.amdhsa_reserve_flat_scratch 0
		.amdhsa_float_round_mode_32 0
		.amdhsa_float_round_mode_16_64 0
		.amdhsa_float_denorm_mode_32 3
		.amdhsa_float_denorm_mode_16_64 3
		.amdhsa_dx10_clamp 1
		.amdhsa_ieee_mode 1
		.amdhsa_fp16_overflow 0
		.amdhsa_exception_fp_ieee_invalid_op 0
		.amdhsa_exception_fp_denorm_src 0
		.amdhsa_exception_fp_ieee_div_zero 0
		.amdhsa_exception_fp_ieee_overflow 0
		.amdhsa_exception_fp_ieee_underflow 0
		.amdhsa_exception_fp_ieee_inexact 0
		.amdhsa_exception_int_div_zero 0
	.end_amdhsa_kernel
	.section	.text._ZN2at6native12_GLOBAL__N_137upsample_bicubic2d_backward_out_frameIffEEviT0_S3_bN5torch10headeronly6detail27GenericPackedTensorAccessorINS6_14TensorAccessorIN3c108ArrayRefIlEET_Lm3ENS5_16DefaultPtrTraitsElEENS_6detail16IndexBoundsCheckILm4ElEESC_Lm4ESD_lEENS7_INS8_ISB_KSC_Lm3ESD_lEESH_SJ_Lm4ESD_lEE,"axG",@progbits,_ZN2at6native12_GLOBAL__N_137upsample_bicubic2d_backward_out_frameIffEEviT0_S3_bN5torch10headeronly6detail27GenericPackedTensorAccessorINS6_14TensorAccessorIN3c108ArrayRefIlEET_Lm3ENS5_16DefaultPtrTraitsElEENS_6detail16IndexBoundsCheckILm4ElEESC_Lm4ESD_lEENS7_INS8_ISB_KSC_Lm3ESD_lEESH_SJ_Lm4ESD_lEE,comdat
.Lfunc_end9:
	.size	_ZN2at6native12_GLOBAL__N_137upsample_bicubic2d_backward_out_frameIffEEviT0_S3_bN5torch10headeronly6detail27GenericPackedTensorAccessorINS6_14TensorAccessorIN3c108ArrayRefIlEET_Lm3ENS5_16DefaultPtrTraitsElEENS_6detail16IndexBoundsCheckILm4ElEESC_Lm4ESD_lEENS7_INS8_ISB_KSC_Lm3ESD_lEESH_SJ_Lm4ESD_lEE, .Lfunc_end9-_ZN2at6native12_GLOBAL__N_137upsample_bicubic2d_backward_out_frameIffEEviT0_S3_bN5torch10headeronly6detail27GenericPackedTensorAccessorINS6_14TensorAccessorIN3c108ArrayRefIlEET_Lm3ENS5_16DefaultPtrTraitsElEENS_6detail16IndexBoundsCheckILm4ElEESC_Lm4ESD_lEENS7_INS8_ISB_KSC_Lm3ESD_lEESH_SJ_Lm4ESD_lEE
                                        ; -- End function
	.set _ZN2at6native12_GLOBAL__N_137upsample_bicubic2d_backward_out_frameIffEEviT0_S3_bN5torch10headeronly6detail27GenericPackedTensorAccessorINS6_14TensorAccessorIN3c108ArrayRefIlEET_Lm3ENS5_16DefaultPtrTraitsElEENS_6detail16IndexBoundsCheckILm4ElEESC_Lm4ESD_lEENS7_INS8_ISB_KSC_Lm3ESD_lEESH_SJ_Lm4ESD_lEE.num_vgpr, 39
	.set _ZN2at6native12_GLOBAL__N_137upsample_bicubic2d_backward_out_frameIffEEviT0_S3_bN5torch10headeronly6detail27GenericPackedTensorAccessorINS6_14TensorAccessorIN3c108ArrayRefIlEET_Lm3ENS5_16DefaultPtrTraitsElEENS_6detail16IndexBoundsCheckILm4ElEESC_Lm4ESD_lEENS7_INS8_ISB_KSC_Lm3ESD_lEESH_SJ_Lm4ESD_lEE.num_agpr, 0
	.set _ZN2at6native12_GLOBAL__N_137upsample_bicubic2d_backward_out_frameIffEEviT0_S3_bN5torch10headeronly6detail27GenericPackedTensorAccessorINS6_14TensorAccessorIN3c108ArrayRefIlEET_Lm3ENS5_16DefaultPtrTraitsElEENS_6detail16IndexBoundsCheckILm4ElEESC_Lm4ESD_lEENS7_INS8_ISB_KSC_Lm3ESD_lEESH_SJ_Lm4ESD_lEE.numbered_sgpr, 32
	.set _ZN2at6native12_GLOBAL__N_137upsample_bicubic2d_backward_out_frameIffEEviT0_S3_bN5torch10headeronly6detail27GenericPackedTensorAccessorINS6_14TensorAccessorIN3c108ArrayRefIlEET_Lm3ENS5_16DefaultPtrTraitsElEENS_6detail16IndexBoundsCheckILm4ElEESC_Lm4ESD_lEENS7_INS8_ISB_KSC_Lm3ESD_lEESH_SJ_Lm4ESD_lEE.num_named_barrier, 0
	.set _ZN2at6native12_GLOBAL__N_137upsample_bicubic2d_backward_out_frameIffEEviT0_S3_bN5torch10headeronly6detail27GenericPackedTensorAccessorINS6_14TensorAccessorIN3c108ArrayRefIlEET_Lm3ENS5_16DefaultPtrTraitsElEENS_6detail16IndexBoundsCheckILm4ElEESC_Lm4ESD_lEENS7_INS8_ISB_KSC_Lm3ESD_lEESH_SJ_Lm4ESD_lEE.private_seg_size, 0
	.set _ZN2at6native12_GLOBAL__N_137upsample_bicubic2d_backward_out_frameIffEEviT0_S3_bN5torch10headeronly6detail27GenericPackedTensorAccessorINS6_14TensorAccessorIN3c108ArrayRefIlEET_Lm3ENS5_16DefaultPtrTraitsElEENS_6detail16IndexBoundsCheckILm4ElEESC_Lm4ESD_lEENS7_INS8_ISB_KSC_Lm3ESD_lEESH_SJ_Lm4ESD_lEE.uses_vcc, 1
	.set _ZN2at6native12_GLOBAL__N_137upsample_bicubic2d_backward_out_frameIffEEviT0_S3_bN5torch10headeronly6detail27GenericPackedTensorAccessorINS6_14TensorAccessorIN3c108ArrayRefIlEET_Lm3ENS5_16DefaultPtrTraitsElEENS_6detail16IndexBoundsCheckILm4ElEESC_Lm4ESD_lEENS7_INS8_ISB_KSC_Lm3ESD_lEESH_SJ_Lm4ESD_lEE.uses_flat_scratch, 0
	.set _ZN2at6native12_GLOBAL__N_137upsample_bicubic2d_backward_out_frameIffEEviT0_S3_bN5torch10headeronly6detail27GenericPackedTensorAccessorINS6_14TensorAccessorIN3c108ArrayRefIlEET_Lm3ENS5_16DefaultPtrTraitsElEENS_6detail16IndexBoundsCheckILm4ElEESC_Lm4ESD_lEENS7_INS8_ISB_KSC_Lm3ESD_lEESH_SJ_Lm4ESD_lEE.has_dyn_sized_stack, 0
	.set _ZN2at6native12_GLOBAL__N_137upsample_bicubic2d_backward_out_frameIffEEviT0_S3_bN5torch10headeronly6detail27GenericPackedTensorAccessorINS6_14TensorAccessorIN3c108ArrayRefIlEET_Lm3ENS5_16DefaultPtrTraitsElEENS_6detail16IndexBoundsCheckILm4ElEESC_Lm4ESD_lEENS7_INS8_ISB_KSC_Lm3ESD_lEESH_SJ_Lm4ESD_lEE.has_recursion, 0
	.set _ZN2at6native12_GLOBAL__N_137upsample_bicubic2d_backward_out_frameIffEEviT0_S3_bN5torch10headeronly6detail27GenericPackedTensorAccessorINS6_14TensorAccessorIN3c108ArrayRefIlEET_Lm3ENS5_16DefaultPtrTraitsElEENS_6detail16IndexBoundsCheckILm4ElEESC_Lm4ESD_lEENS7_INS8_ISB_KSC_Lm3ESD_lEESH_SJ_Lm4ESD_lEE.has_indirect_call, 0
	.section	.AMDGPU.csdata,"",@progbits
; Kernel info:
; codeLenInByte = 2884
; TotalNumSgprs: 36
; NumVgprs: 39
; ScratchSize: 0
; MemoryBound: 0
; FloatMode: 240
; IeeeMode: 1
; LDSByteSize: 0 bytes/workgroup (compile time only)
; SGPRBlocks: 4
; VGPRBlocks: 9
; NumSGPRsForWavesPerEU: 36
; NumVGPRsForWavesPerEU: 39
; Occupancy: 6
; WaveLimiterHint : 1
; COMPUTE_PGM_RSRC2:SCRATCH_EN: 0
; COMPUTE_PGM_RSRC2:USER_SGPR: 6
; COMPUTE_PGM_RSRC2:TRAP_HANDLER: 0
; COMPUTE_PGM_RSRC2:TGID_X_EN: 1
; COMPUTE_PGM_RSRC2:TGID_Y_EN: 0
; COMPUTE_PGM_RSRC2:TGID_Z_EN: 0
; COMPUTE_PGM_RSRC2:TIDIG_COMP_CNT: 0
	.section	.text._ZN2at6native12_GLOBAL__N_137upsample_bicubic2d_backward_out_frameIN3c104HalfEfEEviT0_S5_bN5torch10headeronly6detail27GenericPackedTensorAccessorINS8_14TensorAccessorINS3_8ArrayRefIlEET_Lm3ENS7_16DefaultPtrTraitsElEENS_6detail16IndexBoundsCheckILm4ElEESD_Lm4ESE_lEENS9_INSA_ISC_KSD_Lm3ESE_lEESI_SK_Lm4ESE_lEE,"axG",@progbits,_ZN2at6native12_GLOBAL__N_137upsample_bicubic2d_backward_out_frameIN3c104HalfEfEEviT0_S5_bN5torch10headeronly6detail27GenericPackedTensorAccessorINS8_14TensorAccessorINS3_8ArrayRefIlEET_Lm3ENS7_16DefaultPtrTraitsElEENS_6detail16IndexBoundsCheckILm4ElEESD_Lm4ESE_lEENS9_INSA_ISC_KSD_Lm3ESE_lEESI_SK_Lm4ESE_lEE,comdat
	.globl	_ZN2at6native12_GLOBAL__N_137upsample_bicubic2d_backward_out_frameIN3c104HalfEfEEviT0_S5_bN5torch10headeronly6detail27GenericPackedTensorAccessorINS8_14TensorAccessorINS3_8ArrayRefIlEET_Lm3ENS7_16DefaultPtrTraitsElEENS_6detail16IndexBoundsCheckILm4ElEESD_Lm4ESE_lEENS9_INSA_ISC_KSD_Lm3ESE_lEESI_SK_Lm4ESE_lEE ; -- Begin function _ZN2at6native12_GLOBAL__N_137upsample_bicubic2d_backward_out_frameIN3c104HalfEfEEviT0_S5_bN5torch10headeronly6detail27GenericPackedTensorAccessorINS8_14TensorAccessorINS3_8ArrayRefIlEET_Lm3ENS7_16DefaultPtrTraitsElEENS_6detail16IndexBoundsCheckILm4ElEESD_Lm4ESE_lEENS9_INSA_ISC_KSD_Lm3ESE_lEESI_SK_Lm4ESE_lEE
	.p2align	8
	.type	_ZN2at6native12_GLOBAL__N_137upsample_bicubic2d_backward_out_frameIN3c104HalfEfEEviT0_S5_bN5torch10headeronly6detail27GenericPackedTensorAccessorINS8_14TensorAccessorINS3_8ArrayRefIlEET_Lm3ENS7_16DefaultPtrTraitsElEENS_6detail16IndexBoundsCheckILm4ElEESD_Lm4ESE_lEENS9_INSA_ISC_KSD_Lm3ESE_lEESI_SK_Lm4ESE_lEE,@function
_ZN2at6native12_GLOBAL__N_137upsample_bicubic2d_backward_out_frameIN3c104HalfEfEEviT0_S5_bN5torch10headeronly6detail27GenericPackedTensorAccessorINS8_14TensorAccessorINS3_8ArrayRefIlEET_Lm3ENS7_16DefaultPtrTraitsElEENS_6detail16IndexBoundsCheckILm4ElEESD_Lm4ESE_lEENS9_INSA_ISC_KSD_Lm3ESE_lEESI_SK_Lm4ESE_lEE: ; @_ZN2at6native12_GLOBAL__N_137upsample_bicubic2d_backward_out_frameIN3c104HalfEfEEviT0_S5_bN5torch10headeronly6detail27GenericPackedTensorAccessorINS8_14TensorAccessorINS3_8ArrayRefIlEET_Lm3ENS7_16DefaultPtrTraitsElEENS_6detail16IndexBoundsCheckILm4ElEESD_Lm4ESE_lEENS9_INSA_ISC_KSD_Lm3ESE_lEESI_SK_Lm4ESE_lEE
; %bb.0:
	s_load_dword s7, s[4:5], 0xac
	s_load_dwordx4 s[0:3], s[4:5], 0x0
	s_waitcnt lgkmcnt(0)
	s_and_b32 s7, s7, 0xffff
	s_mul_i32 s6, s6, s7
	v_add_u32_e32 v0, s6, v0
	v_cmp_gt_i32_e32 vcc, s0, v0
	s_and_saveexec_b64 s[6:7], vcc
	s_cbranch_execz .LBB10_111
; %bb.1:
	s_load_dwordx4 s[16:19], s[4:5], 0x70
	v_sub_u32_e32 v3, 0, v0
	v_max_i32_e32 v3, v0, v3
	s_load_dwordx8 s[8:15], s[4:5], 0x18
	s_waitcnt lgkmcnt(0)
	s_abs_i32 s0, s18
	v_cvt_f32_u32_e32 v1, s0
	s_sub_i32 s6, 0, s0
	s_cmp_lg_u32 s12, s16
	s_cselect_b64 s[16:17], -1, 0
	v_rcp_iflag_f32_e32 v1, v1
	s_cmp_lg_u32 s14, s18
	v_mul_f32_e32 v1, 0x4f7ffffe, v1
	v_cvt_u32_f32_e32 v1, v1
	v_mul_lo_u32 v2, s6, v1
	s_mov_b64 s[6:7], -1
	v_mul_hi_u32 v2, v1, v2
	v_add_u32_e32 v1, v1, v2
	v_mul_hi_u32 v1, v3, v1
	v_xor_b32_e32 v2, s18, v0
	v_ashrrev_i32_e32 v2, 31, v2
	v_mul_lo_u32 v4, v1, s0
	v_add_u32_e32 v5, 1, v1
	v_sub_u32_e32 v3, v3, v4
	v_cmp_le_u32_e32 vcc, s0, v3
	v_subrev_u32_e32 v4, s0, v3
	v_cndmask_b32_e32 v1, v1, v5, vcc
	v_cndmask_b32_e32 v3, v3, v4, vcc
	v_add_u32_e32 v4, 1, v1
	v_cmp_le_u32_e32 vcc, s0, v3
	v_cndmask_b32_e32 v1, v1, v4, vcc
	v_xor_b32_e32 v1, v1, v2
	v_sub_u32_e32 v23, v1, v2
	v_mul_lo_u32 v1, v23, s18
	s_cselect_b64 s[18:19], -1, 0
	s_or_b64 s[16:17], s[18:19], s[16:17]
	s_and_b64 vcc, exec, s[16:17]
	v_sub_u32_e32 v22, v0, v1
	s_cbranch_vccz .LBB10_105
; %bb.2:
	s_cmp_lt_i32 s8, 1
	s_cbranch_scc1 .LBB10_104
; %bb.3:
	v_cvt_f32_i32_e32 v0, v22
	s_bitcmp1_b32 s3, 0
	v_cvt_f32_i32_e32 v1, v23
	s_cselect_b64 vcc, -1, 0
	v_mul_f32_e32 v2, s2, v0
	v_add_f32_e32 v0, 0.5, v0
	v_fma_f32 v0, s2, v0, -0.5
	v_cndmask_b32_e32 v0, v0, v2, vcc
	v_floor_f32_e32 v2, v0
	v_cvt_i32_f32_e32 v5, v2
	v_mul_f32_e32 v2, s1, v1
	v_add_f32_e32 v1, 0.5, v1
	v_fma_f32 v1, s1, v1, -0.5
	v_cndmask_b32_e32 v2, v1, v2, vcc
	v_floor_f32_e32 v1, v2
	v_cvt_i32_f32_e32 v3, v1
	v_cvt_f32_i32_e32 v1, v5
	v_mov_b32_e32 v7, 0xc0c00000
	v_mov_b32_e32 v24, 0x40400000
	v_cvt_f32_i32_e32 v4, v3
	v_sub_f32_e32 v1, v0, v1
	v_mov_b32_e32 v8, 0x40700000
	s_load_dwordx8 s[16:23], s[4:5], 0x80
	v_sub_f32_e32 v0, v2, v4
	v_add_f32_e32 v2, 1.0, v1
	v_mov_b32_e32 v4, 0x40700000
	v_fmac_f32_e32 v4, 0xbf400000, v2
	v_fma_f32 v4, v2, v4, v7
	v_fma_f32 v25, v2, v4, v24
	v_sub_f32_e32 v2, 1.0, v1
	v_add_f32_e32 v4, 1.0, v2
	v_fmac_f32_e32 v8, 0xbf400000, v4
	v_fma_f32 v8, v4, v8, v7
	v_fma_f32 v26, v4, v8, v24
	v_add_f32_e32 v4, 1.0, v0
	v_mov_b32_e32 v8, 0x40700000
	v_fmac_f32_e32 v8, 0xbf400000, v4
	v_fma_f32 v8, v4, v8, v7
	v_fma_f32 v27, v4, v8, v24
	v_sub_f32_e32 v4, 1.0, v0
	v_mov_b32_e32 v6, 0x40700000
	v_add_f32_e32 v8, 1.0, v4
	v_fmac_f32_e32 v6, 0xbf400000, v8
	v_fmac_f32_e32 v7, v8, v6
	v_ashrrev_i32_e32 v6, 31, v23
	s_load_dwordx8 s[24:31], s[4:5], 0x38
	v_fmac_f32_e32 v24, v8, v7
	s_cmp_gt_i32 s10, 0
	s_waitcnt lgkmcnt(0)
	v_mul_lo_u32 v8, s21, v23
	v_mul_lo_u32 v9, s20, v6
	v_mad_u64_u32 v[6:7], s[0:1], s20, v23, 0
	s_cselect_b64 s[6:7], -1, 0
	v_add_u32_e32 v10, -1, v3
	s_add_i32 s9, s12, -1
	v_min_i32_e32 v10, s9, v10
	s_load_dwordx2 s[0:1], s[4:5], 0x58
	v_max_i32_e32 v15, 0, v10
	v_add3_u32 v7, v7, v9, v8
	v_ashrrev_i32_e32 v8, 31, v22
	v_mad_u64_u32 v[10:11], s[2:3], s28, v15, 0
	v_mul_lo_u32 v13, s23, v22
	v_mul_lo_u32 v14, s22, v8
	v_mad_u64_u32 v[8:9], s[2:3], s22, v22, 0
	v_lshlrev_b64 v[6:7], 1, v[6:7]
	s_waitcnt lgkmcnt(0)
	v_mov_b32_e32 v12, s1
	v_add_co_u32_e32 v16, vcc, s0, v6
	v_mov_b32_e32 v6, v11
	v_addc_co_u32_e32 v17, vcc, v12, v7, vcc
	v_add3_u32 v9, v9, v14, v13
	v_mad_u64_u32 v[6:7], s[0:1], s29, v15, v[6:7]
	v_lshlrev_b64 v[7:8], 1, v[8:9]
	v_add_u32_e32 v9, -1, v5
	s_add_i32 s2, s14, -1
	v_min_i32_e32 v9, s2, v9
	v_max_i32_e32 v9, 0, v9
	v_mad_u64_u32 v[12:13], s[0:1], s30, v9, 0
	v_add_co_u32_e32 v28, vcc, v16, v7
	v_mov_b32_e32 v7, v13
	v_addc_co_u32_e32 v29, vcc, v17, v8, vcc
	v_mad_u64_u32 v[7:8], s[0:1], s31, v9, v[7:8]
	v_min_i32_e32 v8, s2, v5
	v_max_i32_e32 v9, 0, v8
	v_mad_u64_u32 v[14:15], s[0:1], s30, v9, 0
	v_add_u32_e32 v8, 1, v5
	v_min_i32_e32 v8, s2, v8
	v_max_i32_e32 v11, 0, v8
	v_mad_u64_u32 v[16:17], s[0:1], s30, v11, 0
	v_mov_b32_e32 v8, v15
	v_mad_u64_u32 v[8:9], s[0:1], s31, v9, v[8:9]
	v_add_u32_e32 v5, 2, v5
	v_mov_b32_e32 v9, v17
	v_min_i32_e32 v5, s2, v5
	v_mad_u64_u32 v[17:18], s[0:1], s31, v11, v[9:10]
	v_mov_b32_e32 v15, v8
	v_max_i32_e32 v8, 0, v5
	v_mad_u64_u32 v[18:19], s[0:1], s30, v8, 0
	v_min_i32_e32 v5, s9, v3
	v_mov_b32_e32 v13, v7
	v_max_i32_e32 v9, 0, v5
	v_mov_b32_e32 v7, v19
	v_mov_b32_e32 v11, v6
	v_mad_u64_u32 v[5:6], s[0:1], s28, v9, 0
	v_mad_u64_u32 v[7:8], s[0:1], s31, v8, v[7:8]
	s_load_dwordx2 s[12:13], s[4:5], 0x10
	s_mov_b32 s11, 0xffff0000
	v_mad_u64_u32 v[8:9], s[0:1], s29, v9, v[6:7]
	v_add_u32_e32 v6, 1, v3
	v_min_i32_e32 v6, s9, v6
	v_add_u32_e32 v3, 2, v3
	v_max_i32_e32 v6, 0, v6
	v_min_i32_e32 v3, s9, v3
	v_mad_u64_u32 v[20:21], s[0:1], s28, v6, 0
	v_max_i32_e32 v9, 0, v3
	v_mad_u64_u32 v[34:35], s[0:1], s28, v9, 0
	v_mov_b32_e32 v3, v21
	v_mad_u64_u32 v[30:31], s[0:1], s29, v6, v[3:4]
	v_mov_b32_e32 v3, v35
	;; [unrolled: 2-line block ×3, first 2 shown]
	v_fmac_f32_e32 v3, 0x3fa00000, v1
	v_mul_f32_e32 v3, v1, v3
	v_mov_b32_e32 v21, v30
	v_fma_f32 v30, v1, v3, 1.0
	v_mov_b32_e32 v1, 0xc0100000
	v_fmac_f32_e32 v1, 0x3fa00000, v2
	v_mul_f32_e32 v1, v2, v1
	v_mov_b32_e32 v35, v31
	v_fma_f32 v31, v2, v1, 1.0
	v_mov_b32_e32 v1, 0xc0100000
	v_fmac_f32_e32 v1, 0x3fa00000, v0
	v_mul_f32_e32 v1, v0, v1
	v_fma_f32 v32, v0, v1, 1.0
	v_mov_b32_e32 v0, 0xc0100000
	v_fmac_f32_e32 v0, 0x3fa00000, v4
	v_mov_b32_e32 v19, v7
	v_mov_b32_e32 v6, v8
	v_mul_f32_e32 v0, v4, v0
	v_fma_f32 v33, v4, v0, 1.0
	v_lshlrev_b64 v[0:1], 1, v[10:11]
	v_lshlrev_b64 v[2:3], 1, v[5:6]
	;; [unrolled: 1-line block ×8, first 2 shown]
	s_mov_b32 s9, 0
	v_mov_b32_e32 v17, 0
	s_branch .LBB10_5
.LBB10_4:                               ;   in Loop: Header=BB10_5 Depth=1
	s_add_i32 s9, s9, 1
	s_cmp_eq_u32 s9, s8
	s_cbranch_scc1 .LBB10_104
.LBB10_5:                               ; =>This Loop Header: Depth=1
                                        ;     Child Loop BB10_8 Depth 2
                                        ;       Child Loop BB10_10 Depth 3
                                        ;       Child Loop BB10_16 Depth 3
	;; [unrolled: 1-line block ×16, first 2 shown]
	s_andn2_b64 vcc, exec, s[6:7]
	s_cbranch_vccnz .LBB10_4
; %bb.6:                                ;   in Loop: Header=BB10_5 Depth=1
	s_mul_i32 s0, s17, s9
	s_mul_hi_u32 s1, s16, s9
	s_add_i32 s1, s1, s0
	s_mul_i32 s0, s16, s9
	s_lshl_b64 s[0:1], s[0:1], 1
	v_mov_b32_e32 v16, s1
	v_add_co_u32_e32 v34, vcc, s0, v28
	s_mul_i32 s0, s25, s9
	s_mul_hi_u32 s1, s24, s9
	s_add_i32 s1, s1, s0
	s_mul_i32 s0, s24, s9
	s_lshl_b64 s[0:1], s[0:1], 1
	s_waitcnt lgkmcnt(0)
	s_add_u32 s20, s12, s0
	v_addc_co_u32_e32 v35, vcc, v29, v16, vcc
	s_addc_u32 s21, s13, s1
	s_mov_b32 s22, 0
	s_branch .LBB10_8
.LBB10_7:                               ;   in Loop: Header=BB10_8 Depth=2
	s_or_b64 exec, exec, s[14:15]
	s_add_i32 s22, s22, 1
	s_cmp_eq_u32 s22, s10
	s_cbranch_scc1 .LBB10_4
.LBB10_8:                               ;   Parent Loop BB10_5 Depth=1
                                        ; =>  This Loop Header: Depth=2
                                        ;       Child Loop BB10_10 Depth 3
                                        ;       Child Loop BB10_16 Depth 3
	;; [unrolled: 1-line block ×16, first 2 shown]
	s_mul_i32 s0, s19, s22
	s_mul_hi_u32 s1, s18, s22
	s_add_i32 s1, s1, s0
	s_mul_i32 s0, s18, s22
	s_lshl_b64 s[0:1], s[0:1], 1
	v_mov_b32_e32 v16, s1
	v_add_co_u32_e32 v18, vcc, s0, v34
	s_mul_i32 s0, s27, s22
	s_mul_hi_u32 s1, s26, s22
	s_add_i32 s1, s1, s0
	s_mul_i32 s0, s26, s22
	s_lshl_b64 s[0:1], s[0:1], 1
	s_add_u32 s23, s20, s0
	v_addc_co_u32_e32 v19, vcc, v35, v16, vcc
	s_addc_u32 s28, s21, s1
	v_mov_b32_e32 v16, s28
	v_add_co_u32_e32 v37, vcc, s23, v0
	global_load_ushort v20, v[18:19], off
	v_addc_co_u32_e32 v38, vcc, v16, v1, vcc
	v_add_co_u32_e32 v18, vcc, v37, v8
	v_addc_co_u32_e32 v19, vcc, v38, v9, vcc
	v_and_b32_e32 v16, 2, v18
	v_sub_co_u32_e32 v21, vcc, 0, v16
	v_subb_co_u32_e64 v36, s[0:1], 0, 0, vcc
	v_add_co_u32_e32 v18, vcc, v18, v21
	v_addc_co_u32_e32 v19, vcc, v19, v36, vcc
	global_load_dword v21, v[18:19], off
	v_cmp_eq_u64_e32 vcc, 0, v[16:17]
	s_mov_b64 s[14:15], 0
	v_cmp_ne_u32_e64 s[0:1], 0, v16
	s_waitcnt vmcnt(1)
	v_cvt_f32_f16_e32 v36, v20
	v_mul_f32_e32 v39, v27, v36
	v_fma_mixlo_f16 v40, v39, v25, 0
	s_branch .LBB10_10
.LBB10_9:                               ;   in Loop: Header=BB10_10 Depth=3
	s_or_b64 exec, exec, s[2:3]
	global_atomic_cmpswap v16, v[18:19], v[20:21], off glc
	s_waitcnt vmcnt(0)
	v_cmp_eq_u32_e64 s[2:3], v21, v16
	s_or_b64 s[14:15], s[2:3], s[14:15]
	v_mov_b32_e32 v21, v16
	s_andn2_b64 exec, exec, s[14:15]
	s_cbranch_execz .LBB10_14
.LBB10_10:                              ;   Parent Loop BB10_5 Depth=1
                                        ;     Parent Loop BB10_8 Depth=2
                                        ; =>    This Inner Loop Header: Depth=3
	s_waitcnt vmcnt(0)
	v_cndmask_b32_sdwa v16, v21, v21, vcc dst_sel:DWORD dst_unused:UNUSED_PAD src0_sel:WORD_1 src1_sel:DWORD
	v_add_f16_e32 v16, v40, v16
	s_and_saveexec_b64 s[2:3], s[0:1]
	s_xor_b64 s[2:3], exec, s[2:3]
; %bb.11:                               ;   in Loop: Header=BB10_10 Depth=3
	v_and_b32_e32 v20, 0xffff, v21
	v_lshl_or_b32 v20, v16, 16, v20
                                        ; implicit-def: $vgpr16
; %bb.12:                               ;   in Loop: Header=BB10_10 Depth=3
	s_andn2_saveexec_b64 s[2:3], s[2:3]
	s_cbranch_execz .LBB10_9
; %bb.13:                               ;   in Loop: Header=BB10_10 Depth=3
	v_and_or_b32 v20, v21, s11, v16
	s_branch .LBB10_9
.LBB10_14:                              ;   in Loop: Header=BB10_8 Depth=2
	s_or_b64 exec, exec, s[14:15]
	v_add_co_u32_e32 v18, vcc, v37, v10
	v_addc_co_u32_e32 v19, vcc, v38, v11, vcc
	v_and_b32_e32 v16, 2, v18
	v_sub_co_u32_e32 v20, vcc, 0, v16
	v_subb_co_u32_e64 v21, s[0:1], 0, 0, vcc
	v_add_co_u32_e32 v18, vcc, v18, v20
	v_addc_co_u32_e32 v19, vcc, v19, v21, vcc
	global_load_dword v21, v[18:19], off
	v_cmp_eq_u64_e32 vcc, 0, v[16:17]
	v_fma_mixlo_f16 v40, v39, v30, 0
	s_mov_b64 s[14:15], 0
	v_cmp_ne_u32_e64 s[0:1], 0, v16
	s_branch .LBB10_16
.LBB10_15:                              ;   in Loop: Header=BB10_16 Depth=3
	s_or_b64 exec, exec, s[2:3]
	global_atomic_cmpswap v16, v[18:19], v[20:21], off glc
	s_waitcnt vmcnt(0)
	v_cmp_eq_u32_e64 s[2:3], v21, v16
	s_or_b64 s[14:15], s[2:3], s[14:15]
	v_mov_b32_e32 v21, v16
	s_andn2_b64 exec, exec, s[14:15]
	s_cbranch_execz .LBB10_20
.LBB10_16:                              ;   Parent Loop BB10_5 Depth=1
                                        ;     Parent Loop BB10_8 Depth=2
                                        ; =>    This Inner Loop Header: Depth=3
	s_waitcnt vmcnt(0)
	v_cndmask_b32_sdwa v16, v21, v21, vcc dst_sel:DWORD dst_unused:UNUSED_PAD src0_sel:WORD_1 src1_sel:DWORD
	v_add_f16_e32 v16, v40, v16
	s_and_saveexec_b64 s[2:3], s[0:1]
	s_xor_b64 s[2:3], exec, s[2:3]
; %bb.17:                               ;   in Loop: Header=BB10_16 Depth=3
	v_and_b32_e32 v20, 0xffff, v21
	v_lshl_or_b32 v20, v16, 16, v20
                                        ; implicit-def: $vgpr16
; %bb.18:                               ;   in Loop: Header=BB10_16 Depth=3
	s_andn2_saveexec_b64 s[2:3], s[2:3]
	s_cbranch_execz .LBB10_15
; %bb.19:                               ;   in Loop: Header=BB10_16 Depth=3
	v_and_or_b32 v20, v21, s11, v16
	s_branch .LBB10_15
.LBB10_20:                              ;   in Loop: Header=BB10_8 Depth=2
	s_or_b64 exec, exec, s[14:15]
	v_add_co_u32_e32 v18, vcc, v37, v12
	v_addc_co_u32_e32 v19, vcc, v38, v13, vcc
	v_and_b32_e32 v16, 2, v18
	v_sub_co_u32_e32 v20, vcc, 0, v16
	v_subb_co_u32_e64 v21, s[0:1], 0, 0, vcc
	v_add_co_u32_e32 v18, vcc, v18, v20
	v_addc_co_u32_e32 v19, vcc, v19, v21, vcc
	global_load_dword v21, v[18:19], off
	v_cmp_eq_u64_e32 vcc, 0, v[16:17]
	v_fma_mixlo_f16 v40, v39, v31, 0
	s_mov_b64 s[14:15], 0
	v_cmp_ne_u32_e64 s[0:1], 0, v16
	s_branch .LBB10_22
.LBB10_21:                              ;   in Loop: Header=BB10_22 Depth=3
	s_or_b64 exec, exec, s[2:3]
	global_atomic_cmpswap v16, v[18:19], v[20:21], off glc
	s_waitcnt vmcnt(0)
	v_cmp_eq_u32_e64 s[2:3], v21, v16
	s_or_b64 s[14:15], s[2:3], s[14:15]
	v_mov_b32_e32 v21, v16
	s_andn2_b64 exec, exec, s[14:15]
	s_cbranch_execz .LBB10_26
.LBB10_22:                              ;   Parent Loop BB10_5 Depth=1
                                        ;     Parent Loop BB10_8 Depth=2
                                        ; =>    This Inner Loop Header: Depth=3
	s_waitcnt vmcnt(0)
	v_cndmask_b32_sdwa v16, v21, v21, vcc dst_sel:DWORD dst_unused:UNUSED_PAD src0_sel:WORD_1 src1_sel:DWORD
	v_add_f16_e32 v16, v40, v16
	s_and_saveexec_b64 s[2:3], s[0:1]
	s_xor_b64 s[2:3], exec, s[2:3]
; %bb.23:                               ;   in Loop: Header=BB10_22 Depth=3
	v_and_b32_e32 v20, 0xffff, v21
	v_lshl_or_b32 v20, v16, 16, v20
                                        ; implicit-def: $vgpr16
; %bb.24:                               ;   in Loop: Header=BB10_22 Depth=3
	s_andn2_saveexec_b64 s[2:3], s[2:3]
	s_cbranch_execz .LBB10_21
; %bb.25:                               ;   in Loop: Header=BB10_22 Depth=3
	v_and_or_b32 v20, v21, s11, v16
	s_branch .LBB10_21
.LBB10_26:                              ;   in Loop: Header=BB10_8 Depth=2
	;; [unrolled: 42-line block ×3, first 2 shown]
	s_or_b64 exec, exec, s[14:15]
	v_mov_b32_e32 v16, s28
	v_add_co_u32_e32 v37, vcc, s23, v2
	v_addc_co_u32_e32 v38, vcc, v16, v3, vcc
	v_add_co_u32_e32 v18, vcc, v37, v8
	v_addc_co_u32_e32 v19, vcc, v38, v9, vcc
	v_and_b32_e32 v16, 2, v18
	v_sub_co_u32_e32 v20, vcc, 0, v16
	v_subb_co_u32_e64 v21, s[0:1], 0, 0, vcc
	v_add_co_u32_e32 v18, vcc, v18, v20
	v_addc_co_u32_e32 v19, vcc, v19, v21, vcc
	global_load_dword v21, v[18:19], off
	v_mul_f32_e32 v39, v32, v36
	v_cmp_eq_u64_e32 vcc, 0, v[16:17]
	v_fma_mixlo_f16 v40, v39, v25, 0
	s_mov_b64 s[14:15], 0
	v_cmp_ne_u32_e64 s[0:1], 0, v16
	s_branch .LBB10_34
.LBB10_33:                              ;   in Loop: Header=BB10_34 Depth=3
	s_or_b64 exec, exec, s[2:3]
	global_atomic_cmpswap v16, v[18:19], v[20:21], off glc
	s_waitcnt vmcnt(0)
	v_cmp_eq_u32_e64 s[2:3], v21, v16
	s_or_b64 s[14:15], s[2:3], s[14:15]
	v_mov_b32_e32 v21, v16
	s_andn2_b64 exec, exec, s[14:15]
	s_cbranch_execz .LBB10_38
.LBB10_34:                              ;   Parent Loop BB10_5 Depth=1
                                        ;     Parent Loop BB10_8 Depth=2
                                        ; =>    This Inner Loop Header: Depth=3
	s_waitcnt vmcnt(0)
	v_cndmask_b32_sdwa v16, v21, v21, vcc dst_sel:DWORD dst_unused:UNUSED_PAD src0_sel:WORD_1 src1_sel:DWORD
	v_add_f16_e32 v16, v40, v16
	s_and_saveexec_b64 s[2:3], s[0:1]
	s_xor_b64 s[2:3], exec, s[2:3]
; %bb.35:                               ;   in Loop: Header=BB10_34 Depth=3
	v_and_b32_e32 v20, 0xffff, v21
	v_lshl_or_b32 v20, v16, 16, v20
                                        ; implicit-def: $vgpr16
; %bb.36:                               ;   in Loop: Header=BB10_34 Depth=3
	s_andn2_saveexec_b64 s[2:3], s[2:3]
	s_cbranch_execz .LBB10_33
; %bb.37:                               ;   in Loop: Header=BB10_34 Depth=3
	v_and_or_b32 v20, v21, s11, v16
	s_branch .LBB10_33
.LBB10_38:                              ;   in Loop: Header=BB10_8 Depth=2
	s_or_b64 exec, exec, s[14:15]
	v_add_co_u32_e32 v18, vcc, v37, v10
	v_addc_co_u32_e32 v19, vcc, v38, v11, vcc
	v_and_b32_e32 v16, 2, v18
	v_sub_co_u32_e32 v20, vcc, 0, v16
	v_subb_co_u32_e64 v21, s[0:1], 0, 0, vcc
	v_add_co_u32_e32 v18, vcc, v18, v20
	v_addc_co_u32_e32 v19, vcc, v19, v21, vcc
	global_load_dword v21, v[18:19], off
	v_cmp_eq_u64_e32 vcc, 0, v[16:17]
	v_fma_mixlo_f16 v40, v39, v30, 0
	s_mov_b64 s[14:15], 0
	v_cmp_ne_u32_e64 s[0:1], 0, v16
	s_branch .LBB10_40
.LBB10_39:                              ;   in Loop: Header=BB10_40 Depth=3
	s_or_b64 exec, exec, s[2:3]
	global_atomic_cmpswap v16, v[18:19], v[20:21], off glc
	s_waitcnt vmcnt(0)
	v_cmp_eq_u32_e64 s[2:3], v21, v16
	s_or_b64 s[14:15], s[2:3], s[14:15]
	v_mov_b32_e32 v21, v16
	s_andn2_b64 exec, exec, s[14:15]
	s_cbranch_execz .LBB10_44
.LBB10_40:                              ;   Parent Loop BB10_5 Depth=1
                                        ;     Parent Loop BB10_8 Depth=2
                                        ; =>    This Inner Loop Header: Depth=3
	s_waitcnt vmcnt(0)
	v_cndmask_b32_sdwa v16, v21, v21, vcc dst_sel:DWORD dst_unused:UNUSED_PAD src0_sel:WORD_1 src1_sel:DWORD
	v_add_f16_e32 v16, v40, v16
	s_and_saveexec_b64 s[2:3], s[0:1]
	s_xor_b64 s[2:3], exec, s[2:3]
; %bb.41:                               ;   in Loop: Header=BB10_40 Depth=3
	v_and_b32_e32 v20, 0xffff, v21
	v_lshl_or_b32 v20, v16, 16, v20
                                        ; implicit-def: $vgpr16
; %bb.42:                               ;   in Loop: Header=BB10_40 Depth=3
	s_andn2_saveexec_b64 s[2:3], s[2:3]
	s_cbranch_execz .LBB10_39
; %bb.43:                               ;   in Loop: Header=BB10_40 Depth=3
	v_and_or_b32 v20, v21, s11, v16
	s_branch .LBB10_39
.LBB10_44:                              ;   in Loop: Header=BB10_8 Depth=2
	s_or_b64 exec, exec, s[14:15]
	v_add_co_u32_e32 v18, vcc, v37, v12
	v_addc_co_u32_e32 v19, vcc, v38, v13, vcc
	v_and_b32_e32 v16, 2, v18
	v_sub_co_u32_e32 v20, vcc, 0, v16
	v_subb_co_u32_e64 v21, s[0:1], 0, 0, vcc
	v_add_co_u32_e32 v18, vcc, v18, v20
	v_addc_co_u32_e32 v19, vcc, v19, v21, vcc
	global_load_dword v21, v[18:19], off
	;; [unrolled: 42-line block ×3, first 2 shown]
	v_cmp_eq_u64_e32 vcc, 0, v[16:17]
	v_fma_mixlo_f16 v37, v39, v26, 0
	s_mov_b64 s[14:15], 0
	v_cmp_ne_u32_e64 s[0:1], 0, v16
	s_branch .LBB10_52
.LBB10_51:                              ;   in Loop: Header=BB10_52 Depth=3
	s_or_b64 exec, exec, s[2:3]
	global_atomic_cmpswap v16, v[18:19], v[20:21], off glc
	s_waitcnt vmcnt(0)
	v_cmp_eq_u32_e64 s[2:3], v21, v16
	s_or_b64 s[14:15], s[2:3], s[14:15]
	v_mov_b32_e32 v21, v16
	s_andn2_b64 exec, exec, s[14:15]
	s_cbranch_execz .LBB10_56
.LBB10_52:                              ;   Parent Loop BB10_5 Depth=1
                                        ;     Parent Loop BB10_8 Depth=2
                                        ; =>    This Inner Loop Header: Depth=3
	s_waitcnt vmcnt(0)
	v_cndmask_b32_sdwa v16, v21, v21, vcc dst_sel:DWORD dst_unused:UNUSED_PAD src0_sel:WORD_1 src1_sel:DWORD
	v_add_f16_e32 v16, v37, v16
	s_and_saveexec_b64 s[2:3], s[0:1]
	s_xor_b64 s[2:3], exec, s[2:3]
; %bb.53:                               ;   in Loop: Header=BB10_52 Depth=3
	v_and_b32_e32 v20, 0xffff, v21
	v_lshl_or_b32 v20, v16, 16, v20
                                        ; implicit-def: $vgpr16
; %bb.54:                               ;   in Loop: Header=BB10_52 Depth=3
	s_andn2_saveexec_b64 s[2:3], s[2:3]
	s_cbranch_execz .LBB10_51
; %bb.55:                               ;   in Loop: Header=BB10_52 Depth=3
	v_and_or_b32 v20, v21, s11, v16
	s_branch .LBB10_51
.LBB10_56:                              ;   in Loop: Header=BB10_8 Depth=2
	s_or_b64 exec, exec, s[14:15]
	v_mov_b32_e32 v16, s28
	v_add_co_u32_e32 v37, vcc, s23, v4
	v_addc_co_u32_e32 v38, vcc, v16, v5, vcc
	v_add_co_u32_e32 v18, vcc, v37, v8
	v_addc_co_u32_e32 v19, vcc, v38, v9, vcc
	v_and_b32_e32 v16, 2, v18
	v_sub_co_u32_e32 v20, vcc, 0, v16
	v_subb_co_u32_e64 v21, s[0:1], 0, 0, vcc
	v_add_co_u32_e32 v18, vcc, v18, v20
	v_addc_co_u32_e32 v19, vcc, v19, v21, vcc
	global_load_dword v21, v[18:19], off
	v_mul_f32_e32 v39, v33, v36
	v_cmp_eq_u64_e32 vcc, 0, v[16:17]
	v_fma_mixlo_f16 v40, v39, v25, 0
	s_mov_b64 s[14:15], 0
	v_cmp_ne_u32_e64 s[0:1], 0, v16
	s_branch .LBB10_58
.LBB10_57:                              ;   in Loop: Header=BB10_58 Depth=3
	s_or_b64 exec, exec, s[2:3]
	global_atomic_cmpswap v16, v[18:19], v[20:21], off glc
	s_waitcnt vmcnt(0)
	v_cmp_eq_u32_e64 s[2:3], v21, v16
	s_or_b64 s[14:15], s[2:3], s[14:15]
	v_mov_b32_e32 v21, v16
	s_andn2_b64 exec, exec, s[14:15]
	s_cbranch_execz .LBB10_62
.LBB10_58:                              ;   Parent Loop BB10_5 Depth=1
                                        ;     Parent Loop BB10_8 Depth=2
                                        ; =>    This Inner Loop Header: Depth=3
	s_waitcnt vmcnt(0)
	v_cndmask_b32_sdwa v16, v21, v21, vcc dst_sel:DWORD dst_unused:UNUSED_PAD src0_sel:WORD_1 src1_sel:DWORD
	v_add_f16_e32 v16, v40, v16
	s_and_saveexec_b64 s[2:3], s[0:1]
	s_xor_b64 s[2:3], exec, s[2:3]
; %bb.59:                               ;   in Loop: Header=BB10_58 Depth=3
	v_and_b32_e32 v20, 0xffff, v21
	v_lshl_or_b32 v20, v16, 16, v20
                                        ; implicit-def: $vgpr16
; %bb.60:                               ;   in Loop: Header=BB10_58 Depth=3
	s_andn2_saveexec_b64 s[2:3], s[2:3]
	s_cbranch_execz .LBB10_57
; %bb.61:                               ;   in Loop: Header=BB10_58 Depth=3
	v_and_or_b32 v20, v21, s11, v16
	s_branch .LBB10_57
.LBB10_62:                              ;   in Loop: Header=BB10_8 Depth=2
	s_or_b64 exec, exec, s[14:15]
	v_add_co_u32_e32 v18, vcc, v37, v10
	v_addc_co_u32_e32 v19, vcc, v38, v11, vcc
	v_and_b32_e32 v16, 2, v18
	v_sub_co_u32_e32 v20, vcc, 0, v16
	v_subb_co_u32_e64 v21, s[0:1], 0, 0, vcc
	v_add_co_u32_e32 v18, vcc, v18, v20
	v_addc_co_u32_e32 v19, vcc, v19, v21, vcc
	global_load_dword v21, v[18:19], off
	v_cmp_eq_u64_e32 vcc, 0, v[16:17]
	v_fma_mixlo_f16 v40, v39, v30, 0
	s_mov_b64 s[14:15], 0
	v_cmp_ne_u32_e64 s[0:1], 0, v16
	s_branch .LBB10_64
.LBB10_63:                              ;   in Loop: Header=BB10_64 Depth=3
	s_or_b64 exec, exec, s[2:3]
	global_atomic_cmpswap v16, v[18:19], v[20:21], off glc
	s_waitcnt vmcnt(0)
	v_cmp_eq_u32_e64 s[2:3], v21, v16
	s_or_b64 s[14:15], s[2:3], s[14:15]
	v_mov_b32_e32 v21, v16
	s_andn2_b64 exec, exec, s[14:15]
	s_cbranch_execz .LBB10_68
.LBB10_64:                              ;   Parent Loop BB10_5 Depth=1
                                        ;     Parent Loop BB10_8 Depth=2
                                        ; =>    This Inner Loop Header: Depth=3
	s_waitcnt vmcnt(0)
	v_cndmask_b32_sdwa v16, v21, v21, vcc dst_sel:DWORD dst_unused:UNUSED_PAD src0_sel:WORD_1 src1_sel:DWORD
	v_add_f16_e32 v16, v40, v16
	s_and_saveexec_b64 s[2:3], s[0:1]
	s_xor_b64 s[2:3], exec, s[2:3]
; %bb.65:                               ;   in Loop: Header=BB10_64 Depth=3
	v_and_b32_e32 v20, 0xffff, v21
	v_lshl_or_b32 v20, v16, 16, v20
                                        ; implicit-def: $vgpr16
; %bb.66:                               ;   in Loop: Header=BB10_64 Depth=3
	s_andn2_saveexec_b64 s[2:3], s[2:3]
	s_cbranch_execz .LBB10_63
; %bb.67:                               ;   in Loop: Header=BB10_64 Depth=3
	v_and_or_b32 v20, v21, s11, v16
	s_branch .LBB10_63
.LBB10_68:                              ;   in Loop: Header=BB10_8 Depth=2
	s_or_b64 exec, exec, s[14:15]
	v_add_co_u32_e32 v18, vcc, v37, v12
	v_addc_co_u32_e32 v19, vcc, v38, v13, vcc
	v_and_b32_e32 v16, 2, v18
	v_sub_co_u32_e32 v20, vcc, 0, v16
	v_subb_co_u32_e64 v21, s[0:1], 0, 0, vcc
	v_add_co_u32_e32 v18, vcc, v18, v20
	v_addc_co_u32_e32 v19, vcc, v19, v21, vcc
	global_load_dword v21, v[18:19], off
	;; [unrolled: 42-line block ×3, first 2 shown]
	v_cmp_eq_u64_e32 vcc, 0, v[16:17]
	v_fma_mixlo_f16 v37, v39, v26, 0
	s_mov_b64 s[14:15], 0
	v_cmp_ne_u32_e64 s[0:1], 0, v16
	s_branch .LBB10_76
.LBB10_75:                              ;   in Loop: Header=BB10_76 Depth=3
	s_or_b64 exec, exec, s[2:3]
	global_atomic_cmpswap v16, v[18:19], v[20:21], off glc
	s_waitcnt vmcnt(0)
	v_cmp_eq_u32_e64 s[2:3], v21, v16
	s_or_b64 s[14:15], s[2:3], s[14:15]
	v_mov_b32_e32 v21, v16
	s_andn2_b64 exec, exec, s[14:15]
	s_cbranch_execz .LBB10_80
.LBB10_76:                              ;   Parent Loop BB10_5 Depth=1
                                        ;     Parent Loop BB10_8 Depth=2
                                        ; =>    This Inner Loop Header: Depth=3
	s_waitcnt vmcnt(0)
	v_cndmask_b32_sdwa v16, v21, v21, vcc dst_sel:DWORD dst_unused:UNUSED_PAD src0_sel:WORD_1 src1_sel:DWORD
	v_add_f16_e32 v16, v37, v16
	s_and_saveexec_b64 s[2:3], s[0:1]
	s_xor_b64 s[2:3], exec, s[2:3]
; %bb.77:                               ;   in Loop: Header=BB10_76 Depth=3
	v_and_b32_e32 v20, 0xffff, v21
	v_lshl_or_b32 v20, v16, 16, v20
                                        ; implicit-def: $vgpr16
; %bb.78:                               ;   in Loop: Header=BB10_76 Depth=3
	s_andn2_saveexec_b64 s[2:3], s[2:3]
	s_cbranch_execz .LBB10_75
; %bb.79:                               ;   in Loop: Header=BB10_76 Depth=3
	v_and_or_b32 v20, v21, s11, v16
	s_branch .LBB10_75
.LBB10_80:                              ;   in Loop: Header=BB10_8 Depth=2
	s_or_b64 exec, exec, s[14:15]
	v_mov_b32_e32 v16, s28
	v_add_co_u32_e32 v37, vcc, s23, v6
	v_addc_co_u32_e32 v38, vcc, v16, v7, vcc
	v_add_co_u32_e32 v18, vcc, v37, v8
	v_addc_co_u32_e32 v19, vcc, v38, v9, vcc
	v_and_b32_e32 v16, 2, v18
	v_sub_co_u32_e32 v20, vcc, 0, v16
	v_subb_co_u32_e64 v21, s[0:1], 0, 0, vcc
	v_add_co_u32_e32 v18, vcc, v18, v20
	v_addc_co_u32_e32 v19, vcc, v19, v21, vcc
	global_load_dword v21, v[18:19], off
	v_mul_f32_e32 v36, v24, v36
	v_cmp_eq_u64_e32 vcc, 0, v[16:17]
	v_fma_mixlo_f16 v39, v36, v25, 0
	s_mov_b64 s[14:15], 0
	v_cmp_ne_u32_e64 s[0:1], 0, v16
	s_branch .LBB10_82
.LBB10_81:                              ;   in Loop: Header=BB10_82 Depth=3
	s_or_b64 exec, exec, s[2:3]
	global_atomic_cmpswap v16, v[18:19], v[20:21], off glc
	s_waitcnt vmcnt(0)
	v_cmp_eq_u32_e64 s[2:3], v21, v16
	s_or_b64 s[14:15], s[2:3], s[14:15]
	v_mov_b32_e32 v21, v16
	s_andn2_b64 exec, exec, s[14:15]
	s_cbranch_execz .LBB10_86
.LBB10_82:                              ;   Parent Loop BB10_5 Depth=1
                                        ;     Parent Loop BB10_8 Depth=2
                                        ; =>    This Inner Loop Header: Depth=3
	s_waitcnt vmcnt(0)
	v_cndmask_b32_sdwa v16, v21, v21, vcc dst_sel:DWORD dst_unused:UNUSED_PAD src0_sel:WORD_1 src1_sel:DWORD
	v_add_f16_e32 v16, v39, v16
	s_and_saveexec_b64 s[2:3], s[0:1]
	s_xor_b64 s[2:3], exec, s[2:3]
; %bb.83:                               ;   in Loop: Header=BB10_82 Depth=3
	v_and_b32_e32 v20, 0xffff, v21
	v_lshl_or_b32 v20, v16, 16, v20
                                        ; implicit-def: $vgpr16
; %bb.84:                               ;   in Loop: Header=BB10_82 Depth=3
	s_andn2_saveexec_b64 s[2:3], s[2:3]
	s_cbranch_execz .LBB10_81
; %bb.85:                               ;   in Loop: Header=BB10_82 Depth=3
	v_and_or_b32 v20, v21, s11, v16
	s_branch .LBB10_81
.LBB10_86:                              ;   in Loop: Header=BB10_8 Depth=2
	s_or_b64 exec, exec, s[14:15]
	v_add_co_u32_e32 v18, vcc, v37, v10
	v_addc_co_u32_e32 v19, vcc, v38, v11, vcc
	v_and_b32_e32 v16, 2, v18
	v_sub_co_u32_e32 v20, vcc, 0, v16
	v_subb_co_u32_e64 v21, s[0:1], 0, 0, vcc
	v_add_co_u32_e32 v18, vcc, v18, v20
	v_addc_co_u32_e32 v19, vcc, v19, v21, vcc
	global_load_dword v21, v[18:19], off
	v_cmp_eq_u64_e32 vcc, 0, v[16:17]
	v_fma_mixlo_f16 v39, v36, v30, 0
	s_mov_b64 s[14:15], 0
	v_cmp_ne_u32_e64 s[0:1], 0, v16
	s_branch .LBB10_88
.LBB10_87:                              ;   in Loop: Header=BB10_88 Depth=3
	s_or_b64 exec, exec, s[2:3]
	global_atomic_cmpswap v16, v[18:19], v[20:21], off glc
	s_waitcnt vmcnt(0)
	v_cmp_eq_u32_e64 s[2:3], v21, v16
	s_or_b64 s[14:15], s[2:3], s[14:15]
	v_mov_b32_e32 v21, v16
	s_andn2_b64 exec, exec, s[14:15]
	s_cbranch_execz .LBB10_92
.LBB10_88:                              ;   Parent Loop BB10_5 Depth=1
                                        ;     Parent Loop BB10_8 Depth=2
                                        ; =>    This Inner Loop Header: Depth=3
	s_waitcnt vmcnt(0)
	v_cndmask_b32_sdwa v16, v21, v21, vcc dst_sel:DWORD dst_unused:UNUSED_PAD src0_sel:WORD_1 src1_sel:DWORD
	v_add_f16_e32 v16, v39, v16
	s_and_saveexec_b64 s[2:3], s[0:1]
	s_xor_b64 s[2:3], exec, s[2:3]
; %bb.89:                               ;   in Loop: Header=BB10_88 Depth=3
	v_and_b32_e32 v20, 0xffff, v21
	v_lshl_or_b32 v20, v16, 16, v20
                                        ; implicit-def: $vgpr16
; %bb.90:                               ;   in Loop: Header=BB10_88 Depth=3
	s_andn2_saveexec_b64 s[2:3], s[2:3]
	s_cbranch_execz .LBB10_87
; %bb.91:                               ;   in Loop: Header=BB10_88 Depth=3
	v_and_or_b32 v20, v21, s11, v16
	s_branch .LBB10_87
.LBB10_92:                              ;   in Loop: Header=BB10_8 Depth=2
	s_or_b64 exec, exec, s[14:15]
	v_add_co_u32_e32 v18, vcc, v37, v12
	v_addc_co_u32_e32 v19, vcc, v38, v13, vcc
	v_and_b32_e32 v16, 2, v18
	v_sub_co_u32_e32 v20, vcc, 0, v16
	v_subb_co_u32_e64 v21, s[0:1], 0, 0, vcc
	v_add_co_u32_e32 v18, vcc, v18, v20
	v_addc_co_u32_e32 v19, vcc, v19, v21, vcc
	global_load_dword v21, v[18:19], off
	;; [unrolled: 42-line block ×3, first 2 shown]
	v_cmp_eq_u64_e32 vcc, 0, v[16:17]
	v_fma_mixlo_f16 v36, v36, v26, 0
	s_mov_b64 s[14:15], 0
	v_cmp_ne_u32_e64 s[0:1], 0, v16
	s_branch .LBB10_100
.LBB10_99:                              ;   in Loop: Header=BB10_100 Depth=3
	s_or_b64 exec, exec, s[2:3]
	global_atomic_cmpswap v16, v[18:19], v[20:21], off glc
	s_waitcnt vmcnt(0)
	v_cmp_eq_u32_e64 s[2:3], v21, v16
	s_or_b64 s[14:15], s[2:3], s[14:15]
	v_mov_b32_e32 v21, v16
	s_andn2_b64 exec, exec, s[14:15]
	s_cbranch_execz .LBB10_7
.LBB10_100:                             ;   Parent Loop BB10_5 Depth=1
                                        ;     Parent Loop BB10_8 Depth=2
                                        ; =>    This Inner Loop Header: Depth=3
	s_waitcnt vmcnt(0)
	v_cndmask_b32_sdwa v16, v21, v21, vcc dst_sel:DWORD dst_unused:UNUSED_PAD src0_sel:WORD_1 src1_sel:DWORD
	v_add_f16_e32 v16, v36, v16
	s_and_saveexec_b64 s[2:3], s[0:1]
	s_xor_b64 s[2:3], exec, s[2:3]
; %bb.101:                              ;   in Loop: Header=BB10_100 Depth=3
	v_and_b32_e32 v20, 0xffff, v21
	v_lshl_or_b32 v20, v16, 16, v20
                                        ; implicit-def: $vgpr16
; %bb.102:                              ;   in Loop: Header=BB10_100 Depth=3
	s_andn2_saveexec_b64 s[2:3], s[2:3]
	s_cbranch_execz .LBB10_99
; %bb.103:                              ;   in Loop: Header=BB10_100 Depth=3
	v_and_or_b32 v20, v21, s11, v16
	s_branch .LBB10_99
.LBB10_104:
	s_mov_b64 s[6:7], 0
.LBB10_105:
	s_andn2_b64 vcc, exec, s[6:7]
	s_cbranch_vccnz .LBB10_111
; %bb.106:
	s_cmp_lt_i32 s8, 1
	s_cbranch_scc1 .LBB10_111
; %bb.107:
	s_waitcnt lgkmcnt(0)
	s_load_dwordx8 s[12:19], s[4:5], 0x80
	v_ashrrev_i32_e32 v4, 31, v23
	v_ashrrev_i32_e32 v6, 31, v22
	s_cmp_gt_i32 s10, 0
	s_cselect_b64 s[0:1], -1, 0
	s_waitcnt lgkmcnt(0)
	v_mul_lo_u32 v2, s17, v23
	v_mul_lo_u32 v3, s16, v4
	v_mad_u64_u32 v[0:1], s[2:3], s16, v23, 0
	s_load_dwordx2 s[2:3], s[4:5], 0x58
	s_load_dwordx2 s[6:7], s[4:5], 0x10
	s_load_dwordx8 s[20:27], s[4:5], 0x38
	v_mul_lo_u32 v7, s19, v22
	v_add3_u32 v1, v1, v3, v2
	v_mul_lo_u32 v8, s18, v6
	v_mad_u64_u32 v[2:3], s[4:5], s18, v22, 0
	v_lshlrev_b64 v[0:1], 1, v[0:1]
	s_waitcnt lgkmcnt(0)
	v_mov_b32_e32 v5, s3
	v_add_co_u32_e32 v9, vcc, s2, v0
	v_add3_u32 v3, v3, v8, v7
	v_addc_co_u32_e32 v5, vcc, v5, v1, vcc
	v_lshlrev_b64 v[0:1], 1, v[2:3]
	v_mul_lo_u32 v7, s25, v23
	v_mul_lo_u32 v4, s24, v4
	v_mad_u64_u32 v[2:3], s[2:3], s24, v23, 0
	v_add_co_u32_e32 v0, vcc, v9, v0
	v_addc_co_u32_e32 v1, vcc, v5, v1, vcc
	v_add3_u32 v3, v3, v4, v7
	v_mul_lo_u32 v8, s27, v22
	v_mul_lo_u32 v6, s26, v6
	v_mad_u64_u32 v[4:5], s[2:3], s26, v22, 0
	v_lshlrev_b64 v[2:3], 1, v[2:3]
	v_mov_b32_e32 v7, s7
	v_add_co_u32_e32 v9, vcc, s6, v2
	v_add3_u32 v5, v5, v6, v8
	v_addc_co_u32_e32 v7, vcc, v7, v3, vcc
	v_lshlrev_b64 v[2:3], 1, v[4:5]
	v_cndmask_b32_e64 v4, 0, 1, s[0:1]
	v_add_co_u32_e32 v2, vcc, v9, v2
	s_mov_b32 s9, 0
	v_addc_co_u32_e32 v3, vcc, v7, v3, vcc
	s_lshl_b64 s[2:3], s[20:21], 1
	s_lshl_b64 s[4:5], s[22:23], 1
	;; [unrolled: 1-line block ×4, first 2 shown]
	v_cmp_ne_u32_e64 s[0:1], 1, v4
	s_branch .LBB10_109
.LBB10_108:                             ;   in Loop: Header=BB10_109 Depth=1
	v_mov_b32_e32 v4, s3
	v_add_co_u32_e32 v2, vcc, s2, v2
	v_addc_co_u32_e32 v3, vcc, v3, v4, vcc
	s_add_i32 s9, s9, 1
	v_mov_b32_e32 v4, s7
	v_add_co_u32_e32 v0, vcc, s6, v0
	s_cmp_eq_u32 s9, s8
	v_addc_co_u32_e32 v1, vcc, v1, v4, vcc
	s_cbranch_scc1 .LBB10_111
.LBB10_109:                             ; =>This Loop Header: Depth=1
                                        ;     Child Loop BB10_110 Depth 2
	v_mov_b32_e32 v5, v1
	v_mov_b32_e32 v7, v3
	s_and_b64 vcc, exec, s[0:1]
	v_mov_b32_e32 v4, v0
	v_mov_b32_e32 v6, v2
	s_mov_b32 s11, s10
	s_cbranch_vccnz .LBB10_108
.LBB10_110:                             ;   Parent Loop BB10_109 Depth=1
                                        ; =>  This Inner Loop Header: Depth=2
	global_load_ushort v8, v[4:5], off
	v_mov_b32_e32 v10, s13
	v_add_co_u32_e32 v4, vcc, s12, v4
	v_addc_co_u32_e32 v5, vcc, v5, v10, vcc
	s_add_i32 s11, s11, -1
	v_mov_b32_e32 v9, s5
	s_cmp_eq_u32 s11, 0
	s_waitcnt vmcnt(0)
	global_store_short v[6:7], v8, off
	v_add_co_u32_e32 v6, vcc, s4, v6
	v_addc_co_u32_e32 v7, vcc, v7, v9, vcc
	s_cbranch_scc0 .LBB10_110
	s_branch .LBB10_108
.LBB10_111:
	s_endpgm
	.section	.rodata,"a",@progbits
	.p2align	6, 0x0
	.amdhsa_kernel _ZN2at6native12_GLOBAL__N_137upsample_bicubic2d_backward_out_frameIN3c104HalfEfEEviT0_S5_bN5torch10headeronly6detail27GenericPackedTensorAccessorINS8_14TensorAccessorINS3_8ArrayRefIlEET_Lm3ENS7_16DefaultPtrTraitsElEENS_6detail16IndexBoundsCheckILm4ElEESD_Lm4ESE_lEENS9_INSA_ISC_KSD_Lm3ESE_lEESI_SK_Lm4ESE_lEE
		.amdhsa_group_segment_fixed_size 0
		.amdhsa_private_segment_fixed_size 0
		.amdhsa_kernarg_size 416
		.amdhsa_user_sgpr_count 6
		.amdhsa_user_sgpr_private_segment_buffer 1
		.amdhsa_user_sgpr_dispatch_ptr 0
		.amdhsa_user_sgpr_queue_ptr 0
		.amdhsa_user_sgpr_kernarg_segment_ptr 1
		.amdhsa_user_sgpr_dispatch_id 0
		.amdhsa_user_sgpr_flat_scratch_init 0
		.amdhsa_user_sgpr_private_segment_size 0
		.amdhsa_uses_dynamic_stack 0
		.amdhsa_system_sgpr_private_segment_wavefront_offset 0
		.amdhsa_system_sgpr_workgroup_id_x 1
		.amdhsa_system_sgpr_workgroup_id_y 0
		.amdhsa_system_sgpr_workgroup_id_z 0
		.amdhsa_system_sgpr_workgroup_info 0
		.amdhsa_system_vgpr_workitem_id 0
		.amdhsa_next_free_vgpr 41
		.amdhsa_next_free_sgpr 32
		.amdhsa_reserve_vcc 1
		.amdhsa_reserve_flat_scratch 0
		.amdhsa_float_round_mode_32 0
		.amdhsa_float_round_mode_16_64 0
		.amdhsa_float_denorm_mode_32 3
		.amdhsa_float_denorm_mode_16_64 3
		.amdhsa_dx10_clamp 1
		.amdhsa_ieee_mode 1
		.amdhsa_fp16_overflow 0
		.amdhsa_exception_fp_ieee_invalid_op 0
		.amdhsa_exception_fp_denorm_src 0
		.amdhsa_exception_fp_ieee_div_zero 0
		.amdhsa_exception_fp_ieee_overflow 0
		.amdhsa_exception_fp_ieee_underflow 0
		.amdhsa_exception_fp_ieee_inexact 0
		.amdhsa_exception_int_div_zero 0
	.end_amdhsa_kernel
	.section	.text._ZN2at6native12_GLOBAL__N_137upsample_bicubic2d_backward_out_frameIN3c104HalfEfEEviT0_S5_bN5torch10headeronly6detail27GenericPackedTensorAccessorINS8_14TensorAccessorINS3_8ArrayRefIlEET_Lm3ENS7_16DefaultPtrTraitsElEENS_6detail16IndexBoundsCheckILm4ElEESD_Lm4ESE_lEENS9_INSA_ISC_KSD_Lm3ESE_lEESI_SK_Lm4ESE_lEE,"axG",@progbits,_ZN2at6native12_GLOBAL__N_137upsample_bicubic2d_backward_out_frameIN3c104HalfEfEEviT0_S5_bN5torch10headeronly6detail27GenericPackedTensorAccessorINS8_14TensorAccessorINS3_8ArrayRefIlEET_Lm3ENS7_16DefaultPtrTraitsElEENS_6detail16IndexBoundsCheckILm4ElEESD_Lm4ESE_lEENS9_INSA_ISC_KSD_Lm3ESE_lEESI_SK_Lm4ESE_lEE,comdat
.Lfunc_end10:
	.size	_ZN2at6native12_GLOBAL__N_137upsample_bicubic2d_backward_out_frameIN3c104HalfEfEEviT0_S5_bN5torch10headeronly6detail27GenericPackedTensorAccessorINS8_14TensorAccessorINS3_8ArrayRefIlEET_Lm3ENS7_16DefaultPtrTraitsElEENS_6detail16IndexBoundsCheckILm4ElEESD_Lm4ESE_lEENS9_INSA_ISC_KSD_Lm3ESE_lEESI_SK_Lm4ESE_lEE, .Lfunc_end10-_ZN2at6native12_GLOBAL__N_137upsample_bicubic2d_backward_out_frameIN3c104HalfEfEEviT0_S5_bN5torch10headeronly6detail27GenericPackedTensorAccessorINS8_14TensorAccessorINS3_8ArrayRefIlEET_Lm3ENS7_16DefaultPtrTraitsElEENS_6detail16IndexBoundsCheckILm4ElEESD_Lm4ESE_lEENS9_INSA_ISC_KSD_Lm3ESE_lEESI_SK_Lm4ESE_lEE
                                        ; -- End function
	.set _ZN2at6native12_GLOBAL__N_137upsample_bicubic2d_backward_out_frameIN3c104HalfEfEEviT0_S5_bN5torch10headeronly6detail27GenericPackedTensorAccessorINS8_14TensorAccessorINS3_8ArrayRefIlEET_Lm3ENS7_16DefaultPtrTraitsElEENS_6detail16IndexBoundsCheckILm4ElEESD_Lm4ESE_lEENS9_INSA_ISC_KSD_Lm3ESE_lEESI_SK_Lm4ESE_lEE.num_vgpr, 41
	.set _ZN2at6native12_GLOBAL__N_137upsample_bicubic2d_backward_out_frameIN3c104HalfEfEEviT0_S5_bN5torch10headeronly6detail27GenericPackedTensorAccessorINS8_14TensorAccessorINS3_8ArrayRefIlEET_Lm3ENS7_16DefaultPtrTraitsElEENS_6detail16IndexBoundsCheckILm4ElEESD_Lm4ESE_lEENS9_INSA_ISC_KSD_Lm3ESE_lEESI_SK_Lm4ESE_lEE.num_agpr, 0
	.set _ZN2at6native12_GLOBAL__N_137upsample_bicubic2d_backward_out_frameIN3c104HalfEfEEviT0_S5_bN5torch10headeronly6detail27GenericPackedTensorAccessorINS8_14TensorAccessorINS3_8ArrayRefIlEET_Lm3ENS7_16DefaultPtrTraitsElEENS_6detail16IndexBoundsCheckILm4ElEESD_Lm4ESE_lEENS9_INSA_ISC_KSD_Lm3ESE_lEESI_SK_Lm4ESE_lEE.numbered_sgpr, 32
	.set _ZN2at6native12_GLOBAL__N_137upsample_bicubic2d_backward_out_frameIN3c104HalfEfEEviT0_S5_bN5torch10headeronly6detail27GenericPackedTensorAccessorINS8_14TensorAccessorINS3_8ArrayRefIlEET_Lm3ENS7_16DefaultPtrTraitsElEENS_6detail16IndexBoundsCheckILm4ElEESD_Lm4ESE_lEENS9_INSA_ISC_KSD_Lm3ESE_lEESI_SK_Lm4ESE_lEE.num_named_barrier, 0
	.set _ZN2at6native12_GLOBAL__N_137upsample_bicubic2d_backward_out_frameIN3c104HalfEfEEviT0_S5_bN5torch10headeronly6detail27GenericPackedTensorAccessorINS8_14TensorAccessorINS3_8ArrayRefIlEET_Lm3ENS7_16DefaultPtrTraitsElEENS_6detail16IndexBoundsCheckILm4ElEESD_Lm4ESE_lEENS9_INSA_ISC_KSD_Lm3ESE_lEESI_SK_Lm4ESE_lEE.private_seg_size, 0
	.set _ZN2at6native12_GLOBAL__N_137upsample_bicubic2d_backward_out_frameIN3c104HalfEfEEviT0_S5_bN5torch10headeronly6detail27GenericPackedTensorAccessorINS8_14TensorAccessorINS3_8ArrayRefIlEET_Lm3ENS7_16DefaultPtrTraitsElEENS_6detail16IndexBoundsCheckILm4ElEESD_Lm4ESE_lEENS9_INSA_ISC_KSD_Lm3ESE_lEESI_SK_Lm4ESE_lEE.uses_vcc, 1
	.set _ZN2at6native12_GLOBAL__N_137upsample_bicubic2d_backward_out_frameIN3c104HalfEfEEviT0_S5_bN5torch10headeronly6detail27GenericPackedTensorAccessorINS8_14TensorAccessorINS3_8ArrayRefIlEET_Lm3ENS7_16DefaultPtrTraitsElEENS_6detail16IndexBoundsCheckILm4ElEESD_Lm4ESE_lEENS9_INSA_ISC_KSD_Lm3ESE_lEESI_SK_Lm4ESE_lEE.uses_flat_scratch, 0
	.set _ZN2at6native12_GLOBAL__N_137upsample_bicubic2d_backward_out_frameIN3c104HalfEfEEviT0_S5_bN5torch10headeronly6detail27GenericPackedTensorAccessorINS8_14TensorAccessorINS3_8ArrayRefIlEET_Lm3ENS7_16DefaultPtrTraitsElEENS_6detail16IndexBoundsCheckILm4ElEESD_Lm4ESE_lEENS9_INSA_ISC_KSD_Lm3ESE_lEESI_SK_Lm4ESE_lEE.has_dyn_sized_stack, 0
	.set _ZN2at6native12_GLOBAL__N_137upsample_bicubic2d_backward_out_frameIN3c104HalfEfEEviT0_S5_bN5torch10headeronly6detail27GenericPackedTensorAccessorINS8_14TensorAccessorINS3_8ArrayRefIlEET_Lm3ENS7_16DefaultPtrTraitsElEENS_6detail16IndexBoundsCheckILm4ElEESD_Lm4ESE_lEENS9_INSA_ISC_KSD_Lm3ESE_lEESI_SK_Lm4ESE_lEE.has_recursion, 0
	.set _ZN2at6native12_GLOBAL__N_137upsample_bicubic2d_backward_out_frameIN3c104HalfEfEEviT0_S5_bN5torch10headeronly6detail27GenericPackedTensorAccessorINS8_14TensorAccessorINS3_8ArrayRefIlEET_Lm3ENS7_16DefaultPtrTraitsElEENS_6detail16IndexBoundsCheckILm4ElEESD_Lm4ESE_lEENS9_INSA_ISC_KSD_Lm3ESE_lEESI_SK_Lm4ESE_lEE.has_indirect_call, 0
	.section	.AMDGPU.csdata,"",@progbits
; Kernel info:
; codeLenInByte = 4568
; TotalNumSgprs: 36
; NumVgprs: 41
; ScratchSize: 0
; MemoryBound: 0
; FloatMode: 240
; IeeeMode: 1
; LDSByteSize: 0 bytes/workgroup (compile time only)
; SGPRBlocks: 4
; VGPRBlocks: 10
; NumSGPRsForWavesPerEU: 36
; NumVGPRsForWavesPerEU: 41
; Occupancy: 5
; WaveLimiterHint : 1
; COMPUTE_PGM_RSRC2:SCRATCH_EN: 0
; COMPUTE_PGM_RSRC2:USER_SGPR: 6
; COMPUTE_PGM_RSRC2:TRAP_HANDLER: 0
; COMPUTE_PGM_RSRC2:TGID_X_EN: 1
; COMPUTE_PGM_RSRC2:TGID_Y_EN: 0
; COMPUTE_PGM_RSRC2:TGID_Z_EN: 0
; COMPUTE_PGM_RSRC2:TIDIG_COMP_CNT: 0
	.section	.text._ZN2at6native12_GLOBAL__N_137upsample_bicubic2d_backward_out_frameIN3c108BFloat16EfEEviT0_S5_bN5torch10headeronly6detail27GenericPackedTensorAccessorINS8_14TensorAccessorINS3_8ArrayRefIlEET_Lm3ENS7_16DefaultPtrTraitsElEENS_6detail16IndexBoundsCheckILm4ElEESD_Lm4ESE_lEENS9_INSA_ISC_KSD_Lm3ESE_lEESI_SK_Lm4ESE_lEE,"axG",@progbits,_ZN2at6native12_GLOBAL__N_137upsample_bicubic2d_backward_out_frameIN3c108BFloat16EfEEviT0_S5_bN5torch10headeronly6detail27GenericPackedTensorAccessorINS8_14TensorAccessorINS3_8ArrayRefIlEET_Lm3ENS7_16DefaultPtrTraitsElEENS_6detail16IndexBoundsCheckILm4ElEESD_Lm4ESE_lEENS9_INSA_ISC_KSD_Lm3ESE_lEESI_SK_Lm4ESE_lEE,comdat
	.globl	_ZN2at6native12_GLOBAL__N_137upsample_bicubic2d_backward_out_frameIN3c108BFloat16EfEEviT0_S5_bN5torch10headeronly6detail27GenericPackedTensorAccessorINS8_14TensorAccessorINS3_8ArrayRefIlEET_Lm3ENS7_16DefaultPtrTraitsElEENS_6detail16IndexBoundsCheckILm4ElEESD_Lm4ESE_lEENS9_INSA_ISC_KSD_Lm3ESE_lEESI_SK_Lm4ESE_lEE ; -- Begin function _ZN2at6native12_GLOBAL__N_137upsample_bicubic2d_backward_out_frameIN3c108BFloat16EfEEviT0_S5_bN5torch10headeronly6detail27GenericPackedTensorAccessorINS8_14TensorAccessorINS3_8ArrayRefIlEET_Lm3ENS7_16DefaultPtrTraitsElEENS_6detail16IndexBoundsCheckILm4ElEESD_Lm4ESE_lEENS9_INSA_ISC_KSD_Lm3ESE_lEESI_SK_Lm4ESE_lEE
	.p2align	8
	.type	_ZN2at6native12_GLOBAL__N_137upsample_bicubic2d_backward_out_frameIN3c108BFloat16EfEEviT0_S5_bN5torch10headeronly6detail27GenericPackedTensorAccessorINS8_14TensorAccessorINS3_8ArrayRefIlEET_Lm3ENS7_16DefaultPtrTraitsElEENS_6detail16IndexBoundsCheckILm4ElEESD_Lm4ESE_lEENS9_INSA_ISC_KSD_Lm3ESE_lEESI_SK_Lm4ESE_lEE,@function
_ZN2at6native12_GLOBAL__N_137upsample_bicubic2d_backward_out_frameIN3c108BFloat16EfEEviT0_S5_bN5torch10headeronly6detail27GenericPackedTensorAccessorINS8_14TensorAccessorINS3_8ArrayRefIlEET_Lm3ENS7_16DefaultPtrTraitsElEENS_6detail16IndexBoundsCheckILm4ElEESD_Lm4ESE_lEENS9_INSA_ISC_KSD_Lm3ESE_lEESI_SK_Lm4ESE_lEE: ; @_ZN2at6native12_GLOBAL__N_137upsample_bicubic2d_backward_out_frameIN3c108BFloat16EfEEviT0_S5_bN5torch10headeronly6detail27GenericPackedTensorAccessorINS8_14TensorAccessorINS3_8ArrayRefIlEET_Lm3ENS7_16DefaultPtrTraitsElEENS_6detail16IndexBoundsCheckILm4ElEESD_Lm4ESE_lEENS9_INSA_ISC_KSD_Lm3ESE_lEESI_SK_Lm4ESE_lEE
; %bb.0:
	s_load_dword s7, s[4:5], 0xac
	s_load_dwordx4 s[0:3], s[4:5], 0x0
	s_waitcnt lgkmcnt(0)
	s_and_b32 s7, s7, 0xffff
	s_mul_i32 s6, s6, s7
	v_add_u32_e32 v0, s6, v0
	v_cmp_gt_i32_e32 vcc, s0, v0
	s_and_saveexec_b64 s[6:7], vcc
	s_cbranch_execz .LBB11_47
; %bb.1:
	s_load_dwordx4 s[16:19], s[4:5], 0x70
	v_sub_u32_e32 v3, 0, v0
	v_max_i32_e32 v3, v0, v3
	s_load_dwordx8 s[8:15], s[4:5], 0x18
	s_waitcnt lgkmcnt(0)
	s_abs_i32 s0, s18
	v_cvt_f32_u32_e32 v1, s0
	s_sub_i32 s6, 0, s0
	s_cmp_lg_u32 s12, s16
	s_cselect_b64 s[16:17], -1, 0
	v_rcp_iflag_f32_e32 v1, v1
	s_cmp_lg_u32 s14, s18
	v_mul_f32_e32 v1, 0x4f7ffffe, v1
	v_cvt_u32_f32_e32 v1, v1
	v_mul_lo_u32 v2, s6, v1
	s_mov_b64 s[6:7], -1
	v_mul_hi_u32 v2, v1, v2
	v_add_u32_e32 v1, v1, v2
	v_mul_hi_u32 v1, v3, v1
	v_xor_b32_e32 v2, s18, v0
	v_ashrrev_i32_e32 v2, 31, v2
	v_mul_lo_u32 v4, v1, s0
	v_add_u32_e32 v5, 1, v1
	v_sub_u32_e32 v3, v3, v4
	v_cmp_le_u32_e32 vcc, s0, v3
	v_subrev_u32_e32 v4, s0, v3
	v_cndmask_b32_e32 v1, v1, v5, vcc
	v_cndmask_b32_e32 v3, v3, v4, vcc
	v_add_u32_e32 v4, 1, v1
	v_cmp_le_u32_e32 vcc, s0, v3
	v_cndmask_b32_e32 v1, v1, v4, vcc
	v_xor_b32_e32 v1, v1, v2
	v_sub_u32_e32 v23, v1, v2
	v_mul_lo_u32 v1, v23, s18
	s_cselect_b64 s[18:19], -1, 0
	s_or_b64 s[16:17], s[18:19], s[16:17]
	s_and_b64 vcc, exec, s[16:17]
	v_sub_u32_e32 v22, v0, v1
	s_cbranch_vccz .LBB11_41
; %bb.2:
	s_cmp_lt_i32 s8, 1
	s_cbranch_scc1 .LBB11_40
; %bb.3:
	v_cvt_f32_i32_e32 v0, v22
	s_bitcmp1_b32 s3, 0
	v_cvt_f32_i32_e32 v1, v23
	s_cselect_b64 vcc, -1, 0
	v_mul_f32_e32 v2, s2, v0
	v_add_f32_e32 v0, 0.5, v0
	v_fma_f32 v0, s2, v0, -0.5
	v_cndmask_b32_e32 v0, v0, v2, vcc
	v_floor_f32_e32 v2, v0
	v_cvt_i32_f32_e32 v5, v2
	v_mul_f32_e32 v2, s1, v1
	v_add_f32_e32 v1, 0.5, v1
	v_fma_f32 v1, s1, v1, -0.5
	v_cndmask_b32_e32 v2, v1, v2, vcc
	v_floor_f32_e32 v1, v2
	v_cvt_i32_f32_e32 v3, v1
	v_cvt_f32_i32_e32 v1, v5
	v_mov_b32_e32 v7, 0xc0c00000
	v_mov_b32_e32 v24, 0x40400000
	v_cvt_f32_i32_e32 v4, v3
	v_sub_f32_e32 v1, v0, v1
	v_mov_b32_e32 v8, 0x40700000
	s_load_dwordx8 s[16:23], s[4:5], 0x80
	v_sub_f32_e32 v0, v2, v4
	v_add_f32_e32 v2, 1.0, v1
	v_mov_b32_e32 v4, 0x40700000
	v_fmac_f32_e32 v4, 0xbf400000, v2
	v_fma_f32 v4, v2, v4, v7
	v_fma_f32 v25, v2, v4, v24
	v_sub_f32_e32 v2, 1.0, v1
	v_add_f32_e32 v4, 1.0, v2
	v_fmac_f32_e32 v8, 0xbf400000, v4
	v_fma_f32 v8, v4, v8, v7
	v_fma_f32 v26, v4, v8, v24
	v_add_f32_e32 v4, 1.0, v0
	v_mov_b32_e32 v8, 0x40700000
	v_fmac_f32_e32 v8, 0xbf400000, v4
	v_fma_f32 v8, v4, v8, v7
	v_fma_f32 v27, v4, v8, v24
	v_sub_f32_e32 v4, 1.0, v0
	v_mov_b32_e32 v6, 0x40700000
	v_add_f32_e32 v8, 1.0, v4
	v_fmac_f32_e32 v6, 0xbf400000, v8
	v_fmac_f32_e32 v7, v8, v6
	v_ashrrev_i32_e32 v6, 31, v23
	s_load_dwordx8 s[24:31], s[4:5], 0x38
	v_fmac_f32_e32 v24, v8, v7
	s_cmp_gt_i32 s10, 0
	s_waitcnt lgkmcnt(0)
	v_mul_lo_u32 v8, s21, v23
	v_mul_lo_u32 v9, s20, v6
	v_mad_u64_u32 v[6:7], s[0:1], s20, v23, 0
	s_cselect_b64 s[2:3], -1, 0
	v_add_u32_e32 v10, -1, v3
	s_add_i32 s9, s12, -1
	v_min_i32_e32 v10, s9, v10
	s_load_dwordx2 s[0:1], s[4:5], 0x58
	v_max_i32_e32 v15, 0, v10
	v_add3_u32 v7, v7, v9, v8
	v_ashrrev_i32_e32 v8, 31, v22
	v_mad_u64_u32 v[10:11], s[6:7], s28, v15, 0
	v_mul_lo_u32 v13, s23, v22
	v_mul_lo_u32 v14, s22, v8
	v_mad_u64_u32 v[8:9], s[6:7], s22, v22, 0
	v_lshlrev_b64 v[6:7], 1, v[6:7]
	s_waitcnt lgkmcnt(0)
	v_mov_b32_e32 v12, s1
	v_add_co_u32_e32 v16, vcc, s0, v6
	v_mov_b32_e32 v6, v11
	v_addc_co_u32_e32 v17, vcc, v12, v7, vcc
	v_add3_u32 v9, v9, v14, v13
	v_mad_u64_u32 v[6:7], s[0:1], s29, v15, v[6:7]
	v_lshlrev_b64 v[7:8], 1, v[8:9]
	v_add_u32_e32 v9, -1, v5
	s_add_i32 s6, s14, -1
	v_min_i32_e32 v9, s6, v9
	v_max_i32_e32 v9, 0, v9
	v_mad_u64_u32 v[12:13], s[0:1], s30, v9, 0
	v_add_co_u32_e32 v28, vcc, v16, v7
	v_mov_b32_e32 v7, v13
	v_addc_co_u32_e32 v29, vcc, v17, v8, vcc
	v_mad_u64_u32 v[7:8], s[0:1], s31, v9, v[7:8]
	v_min_i32_e32 v8, s6, v5
	v_max_i32_e32 v9, 0, v8
	v_mad_u64_u32 v[14:15], s[0:1], s30, v9, 0
	v_add_u32_e32 v8, 1, v5
	v_min_i32_e32 v8, s6, v8
	v_max_i32_e32 v11, 0, v8
	v_mad_u64_u32 v[16:17], s[0:1], s30, v11, 0
	v_mov_b32_e32 v8, v15
	v_mad_u64_u32 v[8:9], s[0:1], s31, v9, v[8:9]
	v_add_u32_e32 v5, 2, v5
	v_mov_b32_e32 v9, v17
	v_min_i32_e32 v5, s6, v5
	v_mad_u64_u32 v[17:18], s[0:1], s31, v11, v[9:10]
	v_mov_b32_e32 v15, v8
	v_max_i32_e32 v8, 0, v5
	v_mad_u64_u32 v[18:19], s[0:1], s30, v8, 0
	v_min_i32_e32 v5, s9, v3
	v_mov_b32_e32 v13, v7
	v_max_i32_e32 v9, 0, v5
	v_mov_b32_e32 v7, v19
	v_mov_b32_e32 v11, v6
	v_mad_u64_u32 v[5:6], s[0:1], s28, v9, 0
	v_mad_u64_u32 v[7:8], s[0:1], s31, v8, v[7:8]
	s_load_dwordx2 s[6:7], s[4:5], 0x10
	s_movk_i32 s11, 0x7fff
	v_mad_u64_u32 v[8:9], s[0:1], s29, v9, v[6:7]
	v_add_u32_e32 v6, 1, v3
	v_min_i32_e32 v6, s9, v6
	v_add_u32_e32 v3, 2, v3
	v_max_i32_e32 v6, 0, v6
	v_min_i32_e32 v3, s9, v3
	v_mad_u64_u32 v[20:21], s[0:1], s28, v6, 0
	v_max_i32_e32 v9, 0, v3
	v_mad_u64_u32 v[34:35], s[0:1], s28, v9, 0
	v_mov_b32_e32 v3, v21
	v_mad_u64_u32 v[30:31], s[0:1], s29, v6, v[3:4]
	v_mov_b32_e32 v3, v35
	;; [unrolled: 2-line block ×3, first 2 shown]
	v_fmac_f32_e32 v3, 0x3fa00000, v1
	v_mul_f32_e32 v3, v1, v3
	v_mov_b32_e32 v21, v30
	v_fma_f32 v30, v1, v3, 1.0
	v_mov_b32_e32 v1, 0xc0100000
	v_fmac_f32_e32 v1, 0x3fa00000, v2
	v_mul_f32_e32 v1, v2, v1
	v_mov_b32_e32 v35, v31
	v_fma_f32 v31, v2, v1, 1.0
	v_mov_b32_e32 v1, 0xc0100000
	v_fmac_f32_e32 v1, 0x3fa00000, v0
	v_mul_f32_e32 v1, v0, v1
	v_fma_f32 v32, v0, v1, 1.0
	v_mov_b32_e32 v0, 0xc0100000
	v_fmac_f32_e32 v0, 0x3fa00000, v4
	v_mov_b32_e32 v19, v7
	v_mov_b32_e32 v6, v8
	v_mul_f32_e32 v0, v4, v0
	v_fma_f32 v33, v4, v0, 1.0
	v_lshlrev_b64 v[0:1], 1, v[10:11]
	v_lshlrev_b64 v[2:3], 1, v[5:6]
	;; [unrolled: 1-line block ×8, first 2 shown]
	s_mov_b32 s9, 0
	s_mov_b32 s14, 0xffff0000
	v_mov_b32_e32 v34, 0x7fc00000
	v_mov_b32_e32 v35, 0x7fc0
	;; [unrolled: 1-line block ×3, first 2 shown]
	s_branch .LBB11_5
.LBB11_4:                               ;   in Loop: Header=BB11_5 Depth=1
	s_add_i32 s9, s9, 1
	s_cmp_eq_u32 s9, s8
	s_cbranch_scc1 .LBB11_40
.LBB11_5:                               ; =>This Loop Header: Depth=1
                                        ;     Child Loop BB11_7 Depth 2
                                        ;       Child Loop BB11_8 Depth 3
                                        ;       Child Loop BB11_10 Depth 3
	;; [unrolled: 1-line block ×16, first 2 shown]
	s_andn2_b64 vcc, exec, s[2:3]
	s_cbranch_vccnz .LBB11_4
; %bb.6:                                ;   in Loop: Header=BB11_5 Depth=1
	s_mul_i32 s0, s17, s9
	s_mul_hi_u32 s1, s16, s9
	s_add_i32 s1, s1, s0
	s_mul_i32 s0, s16, s9
	s_lshl_b64 s[0:1], s[0:1], 1
	v_mov_b32_e32 v16, s1
	v_add_co_u32_e32 v36, vcc, s0, v28
	s_mul_i32 s0, s25, s9
	s_mul_hi_u32 s1, s24, s9
	s_add_i32 s1, s1, s0
	s_mul_i32 s0, s24, s9
	s_lshl_b64 s[0:1], s[0:1], 1
	s_waitcnt lgkmcnt(0)
	s_add_u32 s15, s6, s0
	v_addc_co_u32_e32 v37, vcc, v29, v16, vcc
	s_addc_u32 s20, s7, s1
	s_mov_b32 s21, 0
.LBB11_7:                               ;   Parent Loop BB11_5 Depth=1
                                        ; =>  This Loop Header: Depth=2
                                        ;       Child Loop BB11_8 Depth 3
                                        ;       Child Loop BB11_10 Depth 3
                                        ;       Child Loop BB11_12 Depth 3
                                        ;       Child Loop BB11_14 Depth 3
                                        ;       Child Loop BB11_16 Depth 3
                                        ;       Child Loop BB11_18 Depth 3
                                        ;       Child Loop BB11_20 Depth 3
                                        ;       Child Loop BB11_22 Depth 3
                                        ;       Child Loop BB11_24 Depth 3
                                        ;       Child Loop BB11_26 Depth 3
                                        ;       Child Loop BB11_28 Depth 3
                                        ;       Child Loop BB11_30 Depth 3
                                        ;       Child Loop BB11_32 Depth 3
                                        ;       Child Loop BB11_34 Depth 3
                                        ;       Child Loop BB11_36 Depth 3
                                        ;       Child Loop BB11_38 Depth 3
	s_mul_i32 s0, s19, s21
	s_mul_hi_u32 s1, s18, s21
	s_add_i32 s1, s1, s0
	s_mul_i32 s0, s18, s21
	s_lshl_b64 s[0:1], s[0:1], 1
	v_mov_b32_e32 v16, s1
	v_add_co_u32_e32 v18, vcc, s0, v36
	s_mul_i32 s0, s27, s21
	s_mul_hi_u32 s1, s26, s21
	s_add_i32 s1, s1, s0
	s_mul_i32 s0, s26, s21
	s_lshl_b64 s[0:1], s[0:1], 1
	s_add_u32 s22, s15, s0
	v_addc_co_u32_e32 v19, vcc, v37, v16, vcc
	s_addc_u32 s23, s20, s1
	global_load_ushort v20, v[18:19], off
	v_mov_b32_e32 v16, s23
	v_add_co_u32_e32 v39, vcc, s22, v0
	v_addc_co_u32_e32 v40, vcc, v16, v1, vcc
	v_add_co_u32_e32 v18, vcc, v39, v8
	v_addc_co_u32_e32 v19, vcc, v40, v9, vcc
	v_and_b32_e32 v16, 2, v18
	v_sub_co_u32_e32 v21, vcc, 0, v16
	v_subb_co_u32_e64 v38, s[0:1], 0, 0, vcc
	v_add_co_u32_e32 v18, vcc, v18, v21
	v_addc_co_u32_e32 v19, vcc, v19, v38, vcc
	global_load_dword v21, v[18:19], off
	v_cmp_eq_u64_e64 s[0:1], 0, v[16:17]
	s_mov_b64 s[12:13], 0
	s_waitcnt vmcnt(1)
	v_lshlrev_b32_e32 v38, 16, v20
	v_mul_f32_e32 v41, v27, v38
	v_mul_f32_e32 v16, v41, v25
	v_bfe_u32 v20, v16, 16, 1
	v_add3_u32 v20, v16, v20, s11
	v_and_b32_e32 v20, 0xffff0000, v20
	v_cmp_o_f32_e32 vcc, v16, v16
	v_cndmask_b32_e32 v16, v34, v20, vcc
.LBB11_8:                               ;   Parent Loop BB11_5 Depth=1
                                        ;     Parent Loop BB11_7 Depth=2
                                        ; =>    This Inner Loop Header: Depth=3
	s_mov_b64 vcc, s[0:1]
	s_waitcnt vmcnt(0)
	v_and_b32_e32 v20, 0xffff, v21
	v_cndmask_b32_sdwa v42, v21, v20, vcc dst_sel:WORD_1 dst_unused:UNUSED_PAD src0_sel:WORD_1 src1_sel:DWORD
	v_add_f32_e32 v42, v16, v42
	v_bfe_u32 v43, v42, 16, 1
	v_cmp_o_f32_e32 vcc, v42, v42
	v_add3_u32 v42, v42, v43, s11
	v_cndmask_b32_sdwa v42, v35, v42, vcc dst_sel:DWORD dst_unused:UNUSED_PAD src0_sel:DWORD src1_sel:WORD_1
	v_lshl_or_b32 v20, v42, 16, v20
	v_and_or_b32 v42, v21, s14, v42
	v_cndmask_b32_e64 v20, v20, v42, s[0:1]
	global_atomic_cmpswap v20, v[18:19], v[20:21], off glc
	s_waitcnt vmcnt(0)
	v_cmp_eq_u32_e32 vcc, v21, v20
	s_or_b64 s[12:13], vcc, s[12:13]
	v_mov_b32_e32 v21, v20
	s_andn2_b64 exec, exec, s[12:13]
	s_cbranch_execnz .LBB11_8
; %bb.9:                                ;   in Loop: Header=BB11_7 Depth=2
	s_or_b64 exec, exec, s[12:13]
	v_add_co_u32_e32 v18, vcc, v39, v10
	v_addc_co_u32_e32 v19, vcc, v40, v11, vcc
	v_and_b32_e32 v16, 2, v18
	v_sub_co_u32_e32 v20, vcc, 0, v16
	v_subb_co_u32_e64 v21, s[0:1], 0, 0, vcc
	v_add_co_u32_e32 v18, vcc, v18, v20
	v_addc_co_u32_e32 v19, vcc, v19, v21, vcc
	global_load_dword v21, v[18:19], off
	v_mul_f32_e32 v20, v41, v30
	v_bfe_u32 v42, v20, 16, 1
	v_add3_u32 v42, v20, v42, s11
	v_and_b32_e32 v42, 0xffff0000, v42
	v_cmp_eq_u64_e64 s[0:1], 0, v[16:17]
	v_cmp_o_f32_e32 vcc, v20, v20
	s_mov_b64 s[12:13], 0
	v_cndmask_b32_e32 v16, v34, v42, vcc
.LBB11_10:                              ;   Parent Loop BB11_5 Depth=1
                                        ;     Parent Loop BB11_7 Depth=2
                                        ; =>    This Inner Loop Header: Depth=3
	s_mov_b64 vcc, s[0:1]
	s_waitcnt vmcnt(0)
	v_and_b32_e32 v20, 0xffff, v21
	v_cndmask_b32_sdwa v42, v21, v20, vcc dst_sel:WORD_1 dst_unused:UNUSED_PAD src0_sel:WORD_1 src1_sel:DWORD
	v_add_f32_e32 v42, v16, v42
	v_bfe_u32 v43, v42, 16, 1
	v_cmp_o_f32_e32 vcc, v42, v42
	v_add3_u32 v42, v42, v43, s11
	v_cndmask_b32_sdwa v42, v35, v42, vcc dst_sel:DWORD dst_unused:UNUSED_PAD src0_sel:DWORD src1_sel:WORD_1
	v_lshl_or_b32 v20, v42, 16, v20
	v_and_or_b32 v42, v21, s14, v42
	v_cndmask_b32_e64 v20, v20, v42, s[0:1]
	global_atomic_cmpswap v20, v[18:19], v[20:21], off glc
	s_waitcnt vmcnt(0)
	v_cmp_eq_u32_e32 vcc, v21, v20
	s_or_b64 s[12:13], vcc, s[12:13]
	v_mov_b32_e32 v21, v20
	s_andn2_b64 exec, exec, s[12:13]
	s_cbranch_execnz .LBB11_10
; %bb.11:                               ;   in Loop: Header=BB11_7 Depth=2
	s_or_b64 exec, exec, s[12:13]
	v_add_co_u32_e32 v18, vcc, v39, v12
	v_addc_co_u32_e32 v19, vcc, v40, v13, vcc
	v_and_b32_e32 v16, 2, v18
	v_sub_co_u32_e32 v20, vcc, 0, v16
	v_subb_co_u32_e64 v21, s[0:1], 0, 0, vcc
	v_add_co_u32_e32 v18, vcc, v18, v20
	v_addc_co_u32_e32 v19, vcc, v19, v21, vcc
	global_load_dword v21, v[18:19], off
	v_mul_f32_e32 v20, v41, v31
	v_bfe_u32 v42, v20, 16, 1
	v_add3_u32 v42, v20, v42, s11
	v_and_b32_e32 v42, 0xffff0000, v42
	v_cmp_eq_u64_e64 s[0:1], 0, v[16:17]
	v_cmp_o_f32_e32 vcc, v20, v20
	s_mov_b64 s[12:13], 0
	v_cndmask_b32_e32 v16, v34, v42, vcc
.LBB11_12:                              ;   Parent Loop BB11_5 Depth=1
                                        ;     Parent Loop BB11_7 Depth=2
                                        ; =>    This Inner Loop Header: Depth=3
	s_mov_b64 vcc, s[0:1]
	s_waitcnt vmcnt(0)
	v_and_b32_e32 v20, 0xffff, v21
	v_cndmask_b32_sdwa v42, v21, v20, vcc dst_sel:WORD_1 dst_unused:UNUSED_PAD src0_sel:WORD_1 src1_sel:DWORD
	v_add_f32_e32 v42, v16, v42
	v_bfe_u32 v43, v42, 16, 1
	v_cmp_o_f32_e32 vcc, v42, v42
	v_add3_u32 v42, v42, v43, s11
	v_cndmask_b32_sdwa v42, v35, v42, vcc dst_sel:DWORD dst_unused:UNUSED_PAD src0_sel:DWORD src1_sel:WORD_1
	v_lshl_or_b32 v20, v42, 16, v20
	v_and_or_b32 v42, v21, s14, v42
	v_cndmask_b32_e64 v20, v20, v42, s[0:1]
	global_atomic_cmpswap v20, v[18:19], v[20:21], off glc
	s_waitcnt vmcnt(0)
	v_cmp_eq_u32_e32 vcc, v21, v20
	s_or_b64 s[12:13], vcc, s[12:13]
	v_mov_b32_e32 v21, v20
	s_andn2_b64 exec, exec, s[12:13]
	s_cbranch_execnz .LBB11_12
; %bb.13:                               ;   in Loop: Header=BB11_7 Depth=2
	;; [unrolled: 40-line block ×3, first 2 shown]
	s_or_b64 exec, exec, s[12:13]
	v_mov_b32_e32 v16, s23
	v_add_co_u32_e32 v39, vcc, s22, v2
	v_addc_co_u32_e32 v40, vcc, v16, v3, vcc
	v_add_co_u32_e32 v18, vcc, v39, v8
	v_addc_co_u32_e32 v19, vcc, v40, v9, vcc
	v_and_b32_e32 v16, 2, v18
	v_sub_co_u32_e32 v20, vcc, 0, v16
	v_subb_co_u32_e64 v21, s[0:1], 0, 0, vcc
	v_add_co_u32_e32 v18, vcc, v18, v20
	v_addc_co_u32_e32 v19, vcc, v19, v21, vcc
	global_load_dword v21, v[18:19], off
	v_mul_f32_e32 v41, v32, v38
	v_mul_f32_e32 v20, v41, v25
	v_bfe_u32 v42, v20, 16, 1
	v_add3_u32 v42, v20, v42, s11
	v_and_b32_e32 v42, 0xffff0000, v42
	v_cmp_eq_u64_e64 s[0:1], 0, v[16:17]
	v_cmp_o_f32_e32 vcc, v20, v20
	s_mov_b64 s[12:13], 0
	v_cndmask_b32_e32 v16, v34, v42, vcc
.LBB11_16:                              ;   Parent Loop BB11_5 Depth=1
                                        ;     Parent Loop BB11_7 Depth=2
                                        ; =>    This Inner Loop Header: Depth=3
	s_mov_b64 vcc, s[0:1]
	s_waitcnt vmcnt(0)
	v_and_b32_e32 v20, 0xffff, v21
	v_cndmask_b32_sdwa v42, v21, v20, vcc dst_sel:WORD_1 dst_unused:UNUSED_PAD src0_sel:WORD_1 src1_sel:DWORD
	v_add_f32_e32 v42, v16, v42
	v_bfe_u32 v43, v42, 16, 1
	v_cmp_o_f32_e32 vcc, v42, v42
	v_add3_u32 v42, v42, v43, s11
	v_cndmask_b32_sdwa v42, v35, v42, vcc dst_sel:DWORD dst_unused:UNUSED_PAD src0_sel:DWORD src1_sel:WORD_1
	v_lshl_or_b32 v20, v42, 16, v20
	v_and_or_b32 v42, v21, s14, v42
	v_cndmask_b32_e64 v20, v20, v42, s[0:1]
	global_atomic_cmpswap v20, v[18:19], v[20:21], off glc
	s_waitcnt vmcnt(0)
	v_cmp_eq_u32_e32 vcc, v21, v20
	s_or_b64 s[12:13], vcc, s[12:13]
	v_mov_b32_e32 v21, v20
	s_andn2_b64 exec, exec, s[12:13]
	s_cbranch_execnz .LBB11_16
; %bb.17:                               ;   in Loop: Header=BB11_7 Depth=2
	s_or_b64 exec, exec, s[12:13]
	v_add_co_u32_e32 v18, vcc, v39, v10
	v_addc_co_u32_e32 v19, vcc, v40, v11, vcc
	v_and_b32_e32 v16, 2, v18
	v_sub_co_u32_e32 v20, vcc, 0, v16
	v_subb_co_u32_e64 v21, s[0:1], 0, 0, vcc
	v_add_co_u32_e32 v18, vcc, v18, v20
	v_addc_co_u32_e32 v19, vcc, v19, v21, vcc
	global_load_dword v21, v[18:19], off
	v_mul_f32_e32 v20, v41, v30
	v_bfe_u32 v42, v20, 16, 1
	v_add3_u32 v42, v20, v42, s11
	v_and_b32_e32 v42, 0xffff0000, v42
	v_cmp_eq_u64_e64 s[0:1], 0, v[16:17]
	v_cmp_o_f32_e32 vcc, v20, v20
	s_mov_b64 s[12:13], 0
	v_cndmask_b32_e32 v16, v34, v42, vcc
.LBB11_18:                              ;   Parent Loop BB11_5 Depth=1
                                        ;     Parent Loop BB11_7 Depth=2
                                        ; =>    This Inner Loop Header: Depth=3
	s_mov_b64 vcc, s[0:1]
	s_waitcnt vmcnt(0)
	v_and_b32_e32 v20, 0xffff, v21
	v_cndmask_b32_sdwa v42, v21, v20, vcc dst_sel:WORD_1 dst_unused:UNUSED_PAD src0_sel:WORD_1 src1_sel:DWORD
	v_add_f32_e32 v42, v16, v42
	v_bfe_u32 v43, v42, 16, 1
	v_cmp_o_f32_e32 vcc, v42, v42
	v_add3_u32 v42, v42, v43, s11
	v_cndmask_b32_sdwa v42, v35, v42, vcc dst_sel:DWORD dst_unused:UNUSED_PAD src0_sel:DWORD src1_sel:WORD_1
	v_lshl_or_b32 v20, v42, 16, v20
	v_and_or_b32 v42, v21, s14, v42
	v_cndmask_b32_e64 v20, v20, v42, s[0:1]
	global_atomic_cmpswap v20, v[18:19], v[20:21], off glc
	s_waitcnt vmcnt(0)
	v_cmp_eq_u32_e32 vcc, v21, v20
	s_or_b64 s[12:13], vcc, s[12:13]
	v_mov_b32_e32 v21, v20
	s_andn2_b64 exec, exec, s[12:13]
	s_cbranch_execnz .LBB11_18
; %bb.19:                               ;   in Loop: Header=BB11_7 Depth=2
	s_or_b64 exec, exec, s[12:13]
	v_add_co_u32_e32 v18, vcc, v39, v12
	v_addc_co_u32_e32 v19, vcc, v40, v13, vcc
	v_and_b32_e32 v16, 2, v18
	v_sub_co_u32_e32 v20, vcc, 0, v16
	v_subb_co_u32_e64 v21, s[0:1], 0, 0, vcc
	v_add_co_u32_e32 v18, vcc, v18, v20
	v_addc_co_u32_e32 v19, vcc, v19, v21, vcc
	global_load_dword v21, v[18:19], off
	v_mul_f32_e32 v20, v41, v31
	v_bfe_u32 v42, v20, 16, 1
	v_add3_u32 v42, v20, v42, s11
	v_and_b32_e32 v42, 0xffff0000, v42
	v_cmp_eq_u64_e64 s[0:1], 0, v[16:17]
	v_cmp_o_f32_e32 vcc, v20, v20
	s_mov_b64 s[12:13], 0
	v_cndmask_b32_e32 v16, v34, v42, vcc
.LBB11_20:                              ;   Parent Loop BB11_5 Depth=1
                                        ;     Parent Loop BB11_7 Depth=2
                                        ; =>    This Inner Loop Header: Depth=3
	s_mov_b64 vcc, s[0:1]
	s_waitcnt vmcnt(0)
	v_and_b32_e32 v20, 0xffff, v21
	v_cndmask_b32_sdwa v42, v21, v20, vcc dst_sel:WORD_1 dst_unused:UNUSED_PAD src0_sel:WORD_1 src1_sel:DWORD
	v_add_f32_e32 v42, v16, v42
	v_bfe_u32 v43, v42, 16, 1
	v_cmp_o_f32_e32 vcc, v42, v42
	v_add3_u32 v42, v42, v43, s11
	v_cndmask_b32_sdwa v42, v35, v42, vcc dst_sel:DWORD dst_unused:UNUSED_PAD src0_sel:DWORD src1_sel:WORD_1
	v_lshl_or_b32 v20, v42, 16, v20
	v_and_or_b32 v42, v21, s14, v42
	v_cndmask_b32_e64 v20, v20, v42, s[0:1]
	global_atomic_cmpswap v20, v[18:19], v[20:21], off glc
	s_waitcnt vmcnt(0)
	v_cmp_eq_u32_e32 vcc, v21, v20
	s_or_b64 s[12:13], vcc, s[12:13]
	v_mov_b32_e32 v21, v20
	s_andn2_b64 exec, exec, s[12:13]
	s_cbranch_execnz .LBB11_20
; %bb.21:                               ;   in Loop: Header=BB11_7 Depth=2
	s_or_b64 exec, exec, s[12:13]
	v_add_co_u32_e32 v18, vcc, v39, v14
	v_addc_co_u32_e32 v19, vcc, v40, v15, vcc
	v_and_b32_e32 v16, 2, v18
	v_sub_co_u32_e32 v20, vcc, 0, v16
	v_subb_co_u32_e64 v21, s[0:1], 0, 0, vcc
	v_add_co_u32_e32 v18, vcc, v18, v20
	v_addc_co_u32_e32 v19, vcc, v19, v21, vcc
	global_load_dword v21, v[18:19], off
	v_mul_f32_e32 v20, v41, v26
	v_bfe_u32 v39, v20, 16, 1
	v_add3_u32 v39, v20, v39, s11
	v_and_b32_e32 v39, 0xffff0000, v39
	v_cmp_eq_u64_e64 s[0:1], 0, v[16:17]
	v_cmp_o_f32_e32 vcc, v20, v20
	s_mov_b64 s[12:13], 0
	v_cndmask_b32_e32 v16, v34, v39, vcc
.LBB11_22:                              ;   Parent Loop BB11_5 Depth=1
                                        ;     Parent Loop BB11_7 Depth=2
                                        ; =>    This Inner Loop Header: Depth=3
	s_mov_b64 vcc, s[0:1]
	s_waitcnt vmcnt(0)
	v_and_b32_e32 v20, 0xffff, v21
	v_cndmask_b32_sdwa v39, v21, v20, vcc dst_sel:WORD_1 dst_unused:UNUSED_PAD src0_sel:WORD_1 src1_sel:DWORD
	v_add_f32_e32 v39, v16, v39
	v_bfe_u32 v40, v39, 16, 1
	v_cmp_o_f32_e32 vcc, v39, v39
	v_add3_u32 v39, v39, v40, s11
	v_cndmask_b32_sdwa v39, v35, v39, vcc dst_sel:DWORD dst_unused:UNUSED_PAD src0_sel:DWORD src1_sel:WORD_1
	v_lshl_or_b32 v20, v39, 16, v20
	v_and_or_b32 v39, v21, s14, v39
	v_cndmask_b32_e64 v20, v20, v39, s[0:1]
	global_atomic_cmpswap v20, v[18:19], v[20:21], off glc
	s_waitcnt vmcnt(0)
	v_cmp_eq_u32_e32 vcc, v21, v20
	s_or_b64 s[12:13], vcc, s[12:13]
	v_mov_b32_e32 v21, v20
	s_andn2_b64 exec, exec, s[12:13]
	s_cbranch_execnz .LBB11_22
; %bb.23:                               ;   in Loop: Header=BB11_7 Depth=2
	s_or_b64 exec, exec, s[12:13]
	v_mov_b32_e32 v16, s23
	v_add_co_u32_e32 v39, vcc, s22, v4
	v_addc_co_u32_e32 v40, vcc, v16, v5, vcc
	v_add_co_u32_e32 v18, vcc, v39, v8
	v_addc_co_u32_e32 v19, vcc, v40, v9, vcc
	v_and_b32_e32 v16, 2, v18
	v_sub_co_u32_e32 v20, vcc, 0, v16
	v_subb_co_u32_e64 v21, s[0:1], 0, 0, vcc
	v_add_co_u32_e32 v18, vcc, v18, v20
	v_addc_co_u32_e32 v19, vcc, v19, v21, vcc
	global_load_dword v21, v[18:19], off
	v_mul_f32_e32 v41, v33, v38
	v_mul_f32_e32 v20, v41, v25
	v_bfe_u32 v42, v20, 16, 1
	v_add3_u32 v42, v20, v42, s11
	v_and_b32_e32 v42, 0xffff0000, v42
	v_cmp_eq_u64_e64 s[0:1], 0, v[16:17]
	v_cmp_o_f32_e32 vcc, v20, v20
	s_mov_b64 s[12:13], 0
	v_cndmask_b32_e32 v16, v34, v42, vcc
.LBB11_24:                              ;   Parent Loop BB11_5 Depth=1
                                        ;     Parent Loop BB11_7 Depth=2
                                        ; =>    This Inner Loop Header: Depth=3
	s_mov_b64 vcc, s[0:1]
	s_waitcnt vmcnt(0)
	v_and_b32_e32 v20, 0xffff, v21
	v_cndmask_b32_sdwa v42, v21, v20, vcc dst_sel:WORD_1 dst_unused:UNUSED_PAD src0_sel:WORD_1 src1_sel:DWORD
	v_add_f32_e32 v42, v16, v42
	v_bfe_u32 v43, v42, 16, 1
	v_cmp_o_f32_e32 vcc, v42, v42
	v_add3_u32 v42, v42, v43, s11
	v_cndmask_b32_sdwa v42, v35, v42, vcc dst_sel:DWORD dst_unused:UNUSED_PAD src0_sel:DWORD src1_sel:WORD_1
	v_lshl_or_b32 v20, v42, 16, v20
	v_and_or_b32 v42, v21, s14, v42
	v_cndmask_b32_e64 v20, v20, v42, s[0:1]
	global_atomic_cmpswap v20, v[18:19], v[20:21], off glc
	s_waitcnt vmcnt(0)
	v_cmp_eq_u32_e32 vcc, v21, v20
	s_or_b64 s[12:13], vcc, s[12:13]
	v_mov_b32_e32 v21, v20
	s_andn2_b64 exec, exec, s[12:13]
	s_cbranch_execnz .LBB11_24
; %bb.25:                               ;   in Loop: Header=BB11_7 Depth=2
	s_or_b64 exec, exec, s[12:13]
	v_add_co_u32_e32 v18, vcc, v39, v10
	v_addc_co_u32_e32 v19, vcc, v40, v11, vcc
	v_and_b32_e32 v16, 2, v18
	v_sub_co_u32_e32 v20, vcc, 0, v16
	v_subb_co_u32_e64 v21, s[0:1], 0, 0, vcc
	v_add_co_u32_e32 v18, vcc, v18, v20
	v_addc_co_u32_e32 v19, vcc, v19, v21, vcc
	global_load_dword v21, v[18:19], off
	v_mul_f32_e32 v20, v41, v30
	v_bfe_u32 v42, v20, 16, 1
	v_add3_u32 v42, v20, v42, s11
	v_and_b32_e32 v42, 0xffff0000, v42
	v_cmp_eq_u64_e64 s[0:1], 0, v[16:17]
	v_cmp_o_f32_e32 vcc, v20, v20
	s_mov_b64 s[12:13], 0
	v_cndmask_b32_e32 v16, v34, v42, vcc
.LBB11_26:                              ;   Parent Loop BB11_5 Depth=1
                                        ;     Parent Loop BB11_7 Depth=2
                                        ; =>    This Inner Loop Header: Depth=3
	s_mov_b64 vcc, s[0:1]
	s_waitcnt vmcnt(0)
	v_and_b32_e32 v20, 0xffff, v21
	v_cndmask_b32_sdwa v42, v21, v20, vcc dst_sel:WORD_1 dst_unused:UNUSED_PAD src0_sel:WORD_1 src1_sel:DWORD
	v_add_f32_e32 v42, v16, v42
	v_bfe_u32 v43, v42, 16, 1
	v_cmp_o_f32_e32 vcc, v42, v42
	v_add3_u32 v42, v42, v43, s11
	v_cndmask_b32_sdwa v42, v35, v42, vcc dst_sel:DWORD dst_unused:UNUSED_PAD src0_sel:DWORD src1_sel:WORD_1
	v_lshl_or_b32 v20, v42, 16, v20
	v_and_or_b32 v42, v21, s14, v42
	v_cndmask_b32_e64 v20, v20, v42, s[0:1]
	global_atomic_cmpswap v20, v[18:19], v[20:21], off glc
	s_waitcnt vmcnt(0)
	v_cmp_eq_u32_e32 vcc, v21, v20
	s_or_b64 s[12:13], vcc, s[12:13]
	v_mov_b32_e32 v21, v20
	s_andn2_b64 exec, exec, s[12:13]
	s_cbranch_execnz .LBB11_26
; %bb.27:                               ;   in Loop: Header=BB11_7 Depth=2
	s_or_b64 exec, exec, s[12:13]
	v_add_co_u32_e32 v18, vcc, v39, v12
	v_addc_co_u32_e32 v19, vcc, v40, v13, vcc
	v_and_b32_e32 v16, 2, v18
	v_sub_co_u32_e32 v20, vcc, 0, v16
	v_subb_co_u32_e64 v21, s[0:1], 0, 0, vcc
	v_add_co_u32_e32 v18, vcc, v18, v20
	v_addc_co_u32_e32 v19, vcc, v19, v21, vcc
	global_load_dword v21, v[18:19], off
	;; [unrolled: 40-line block ×3, first 2 shown]
	v_mul_f32_e32 v20, v41, v26
	v_bfe_u32 v39, v20, 16, 1
	v_add3_u32 v39, v20, v39, s11
	v_and_b32_e32 v39, 0xffff0000, v39
	v_cmp_eq_u64_e64 s[0:1], 0, v[16:17]
	v_cmp_o_f32_e32 vcc, v20, v20
	s_mov_b64 s[12:13], 0
	v_cndmask_b32_e32 v16, v34, v39, vcc
.LBB11_30:                              ;   Parent Loop BB11_5 Depth=1
                                        ;     Parent Loop BB11_7 Depth=2
                                        ; =>    This Inner Loop Header: Depth=3
	s_mov_b64 vcc, s[0:1]
	s_waitcnt vmcnt(0)
	v_and_b32_e32 v20, 0xffff, v21
	v_cndmask_b32_sdwa v39, v21, v20, vcc dst_sel:WORD_1 dst_unused:UNUSED_PAD src0_sel:WORD_1 src1_sel:DWORD
	v_add_f32_e32 v39, v16, v39
	v_bfe_u32 v40, v39, 16, 1
	v_cmp_o_f32_e32 vcc, v39, v39
	v_add3_u32 v39, v39, v40, s11
	v_cndmask_b32_sdwa v39, v35, v39, vcc dst_sel:DWORD dst_unused:UNUSED_PAD src0_sel:DWORD src1_sel:WORD_1
	v_lshl_or_b32 v20, v39, 16, v20
	v_and_or_b32 v39, v21, s14, v39
	v_cndmask_b32_e64 v20, v20, v39, s[0:1]
	global_atomic_cmpswap v20, v[18:19], v[20:21], off glc
	s_waitcnt vmcnt(0)
	v_cmp_eq_u32_e32 vcc, v21, v20
	s_or_b64 s[12:13], vcc, s[12:13]
	v_mov_b32_e32 v21, v20
	s_andn2_b64 exec, exec, s[12:13]
	s_cbranch_execnz .LBB11_30
; %bb.31:                               ;   in Loop: Header=BB11_7 Depth=2
	s_or_b64 exec, exec, s[12:13]
	v_mov_b32_e32 v16, s23
	v_add_co_u32_e32 v39, vcc, s22, v6
	v_addc_co_u32_e32 v40, vcc, v16, v7, vcc
	v_add_co_u32_e32 v18, vcc, v39, v8
	v_addc_co_u32_e32 v19, vcc, v40, v9, vcc
	v_and_b32_e32 v16, 2, v18
	v_sub_co_u32_e32 v20, vcc, 0, v16
	v_subb_co_u32_e64 v21, s[0:1], 0, 0, vcc
	v_add_co_u32_e32 v18, vcc, v18, v20
	v_addc_co_u32_e32 v19, vcc, v19, v21, vcc
	global_load_dword v21, v[18:19], off
	v_mul_f32_e32 v38, v24, v38
	v_mul_f32_e32 v20, v38, v25
	v_bfe_u32 v41, v20, 16, 1
	v_add3_u32 v41, v20, v41, s11
	v_and_b32_e32 v41, 0xffff0000, v41
	v_cmp_eq_u64_e64 s[0:1], 0, v[16:17]
	v_cmp_o_f32_e32 vcc, v20, v20
	s_mov_b64 s[12:13], 0
	v_cndmask_b32_e32 v16, v34, v41, vcc
.LBB11_32:                              ;   Parent Loop BB11_5 Depth=1
                                        ;     Parent Loop BB11_7 Depth=2
                                        ; =>    This Inner Loop Header: Depth=3
	s_mov_b64 vcc, s[0:1]
	s_waitcnt vmcnt(0)
	v_and_b32_e32 v20, 0xffff, v21
	v_cndmask_b32_sdwa v41, v21, v20, vcc dst_sel:WORD_1 dst_unused:UNUSED_PAD src0_sel:WORD_1 src1_sel:DWORD
	v_add_f32_e32 v41, v16, v41
	v_bfe_u32 v42, v41, 16, 1
	v_cmp_o_f32_e32 vcc, v41, v41
	v_add3_u32 v41, v41, v42, s11
	v_cndmask_b32_sdwa v41, v35, v41, vcc dst_sel:DWORD dst_unused:UNUSED_PAD src0_sel:DWORD src1_sel:WORD_1
	v_lshl_or_b32 v20, v41, 16, v20
	v_and_or_b32 v41, v21, s14, v41
	v_cndmask_b32_e64 v20, v20, v41, s[0:1]
	global_atomic_cmpswap v20, v[18:19], v[20:21], off glc
	s_waitcnt vmcnt(0)
	v_cmp_eq_u32_e32 vcc, v21, v20
	s_or_b64 s[12:13], vcc, s[12:13]
	v_mov_b32_e32 v21, v20
	s_andn2_b64 exec, exec, s[12:13]
	s_cbranch_execnz .LBB11_32
; %bb.33:                               ;   in Loop: Header=BB11_7 Depth=2
	s_or_b64 exec, exec, s[12:13]
	v_add_co_u32_e32 v18, vcc, v39, v10
	v_addc_co_u32_e32 v19, vcc, v40, v11, vcc
	v_and_b32_e32 v16, 2, v18
	v_sub_co_u32_e32 v20, vcc, 0, v16
	v_subb_co_u32_e64 v21, s[0:1], 0, 0, vcc
	v_add_co_u32_e32 v18, vcc, v18, v20
	v_addc_co_u32_e32 v19, vcc, v19, v21, vcc
	global_load_dword v21, v[18:19], off
	v_mul_f32_e32 v20, v38, v30
	v_bfe_u32 v41, v20, 16, 1
	v_add3_u32 v41, v20, v41, s11
	v_and_b32_e32 v41, 0xffff0000, v41
	v_cmp_eq_u64_e64 s[0:1], 0, v[16:17]
	v_cmp_o_f32_e32 vcc, v20, v20
	s_mov_b64 s[12:13], 0
	v_cndmask_b32_e32 v16, v34, v41, vcc
.LBB11_34:                              ;   Parent Loop BB11_5 Depth=1
                                        ;     Parent Loop BB11_7 Depth=2
                                        ; =>    This Inner Loop Header: Depth=3
	s_mov_b64 vcc, s[0:1]
	s_waitcnt vmcnt(0)
	v_and_b32_e32 v20, 0xffff, v21
	v_cndmask_b32_sdwa v41, v21, v20, vcc dst_sel:WORD_1 dst_unused:UNUSED_PAD src0_sel:WORD_1 src1_sel:DWORD
	v_add_f32_e32 v41, v16, v41
	v_bfe_u32 v42, v41, 16, 1
	v_cmp_o_f32_e32 vcc, v41, v41
	v_add3_u32 v41, v41, v42, s11
	v_cndmask_b32_sdwa v41, v35, v41, vcc dst_sel:DWORD dst_unused:UNUSED_PAD src0_sel:DWORD src1_sel:WORD_1
	v_lshl_or_b32 v20, v41, 16, v20
	v_and_or_b32 v41, v21, s14, v41
	v_cndmask_b32_e64 v20, v20, v41, s[0:1]
	global_atomic_cmpswap v20, v[18:19], v[20:21], off glc
	s_waitcnt vmcnt(0)
	v_cmp_eq_u32_e32 vcc, v21, v20
	s_or_b64 s[12:13], vcc, s[12:13]
	v_mov_b32_e32 v21, v20
	s_andn2_b64 exec, exec, s[12:13]
	s_cbranch_execnz .LBB11_34
; %bb.35:                               ;   in Loop: Header=BB11_7 Depth=2
	s_or_b64 exec, exec, s[12:13]
	v_add_co_u32_e32 v18, vcc, v39, v12
	v_addc_co_u32_e32 v19, vcc, v40, v13, vcc
	v_and_b32_e32 v16, 2, v18
	v_sub_co_u32_e32 v20, vcc, 0, v16
	v_subb_co_u32_e64 v21, s[0:1], 0, 0, vcc
	v_add_co_u32_e32 v18, vcc, v18, v20
	v_addc_co_u32_e32 v19, vcc, v19, v21, vcc
	global_load_dword v21, v[18:19], off
	;; [unrolled: 40-line block ×3, first 2 shown]
	v_mul_f32_e32 v20, v38, v26
	v_bfe_u32 v38, v20, 16, 1
	v_add3_u32 v38, v20, v38, s11
	v_and_b32_e32 v38, 0xffff0000, v38
	v_cmp_eq_u64_e64 s[0:1], 0, v[16:17]
	v_cmp_o_f32_e32 vcc, v20, v20
	s_mov_b64 s[12:13], 0
	v_cndmask_b32_e32 v16, v34, v38, vcc
.LBB11_38:                              ;   Parent Loop BB11_5 Depth=1
                                        ;     Parent Loop BB11_7 Depth=2
                                        ; =>    This Inner Loop Header: Depth=3
	s_mov_b64 vcc, s[0:1]
	s_waitcnt vmcnt(0)
	v_and_b32_e32 v20, 0xffff, v21
	v_cndmask_b32_sdwa v38, v21, v20, vcc dst_sel:WORD_1 dst_unused:UNUSED_PAD src0_sel:WORD_1 src1_sel:DWORD
	v_add_f32_e32 v38, v16, v38
	v_bfe_u32 v39, v38, 16, 1
	v_cmp_o_f32_e32 vcc, v38, v38
	v_add3_u32 v38, v38, v39, s11
	v_cndmask_b32_sdwa v38, v35, v38, vcc dst_sel:DWORD dst_unused:UNUSED_PAD src0_sel:DWORD src1_sel:WORD_1
	v_lshl_or_b32 v20, v38, 16, v20
	v_and_or_b32 v38, v21, s14, v38
	v_cndmask_b32_e64 v20, v20, v38, s[0:1]
	global_atomic_cmpswap v20, v[18:19], v[20:21], off glc
	s_waitcnt vmcnt(0)
	v_cmp_eq_u32_e32 vcc, v21, v20
	s_or_b64 s[12:13], vcc, s[12:13]
	v_mov_b32_e32 v21, v20
	s_andn2_b64 exec, exec, s[12:13]
	s_cbranch_execnz .LBB11_38
; %bb.39:                               ;   in Loop: Header=BB11_7 Depth=2
	s_or_b64 exec, exec, s[12:13]
	s_add_i32 s21, s21, 1
	s_cmp_eq_u32 s21, s10
	s_cbranch_scc0 .LBB11_7
	s_branch .LBB11_4
.LBB11_40:
	s_waitcnt lgkmcnt(0)
	s_mov_b64 s[6:7], 0
.LBB11_41:
	s_andn2_b64 vcc, exec, s[6:7]
	s_cbranch_vccnz .LBB11_47
; %bb.42:
	s_cmp_lt_i32 s8, 1
	s_cbranch_scc1 .LBB11_47
; %bb.43:
	s_load_dwordx8 s[12:19], s[4:5], 0x80
	v_ashrrev_i32_e32 v4, 31, v23
	v_ashrrev_i32_e32 v6, 31, v22
	s_cmp_gt_i32 s10, 0
	s_cselect_b64 s[0:1], -1, 0
	s_waitcnt lgkmcnt(0)
	v_mul_lo_u32 v2, s17, v23
	v_mul_lo_u32 v3, s16, v4
	v_mad_u64_u32 v[0:1], s[2:3], s16, v23, 0
	s_load_dwordx2 s[2:3], s[4:5], 0x58
	s_load_dwordx2 s[6:7], s[4:5], 0x10
	s_load_dwordx8 s[20:27], s[4:5], 0x38
	v_mul_lo_u32 v7, s19, v22
	v_add3_u32 v1, v1, v3, v2
	v_mul_lo_u32 v8, s18, v6
	v_mad_u64_u32 v[2:3], s[4:5], s18, v22, 0
	v_lshlrev_b64 v[0:1], 1, v[0:1]
	s_waitcnt lgkmcnt(0)
	v_mov_b32_e32 v5, s3
	v_add_co_u32_e32 v9, vcc, s2, v0
	v_add3_u32 v3, v3, v8, v7
	v_addc_co_u32_e32 v5, vcc, v5, v1, vcc
	v_lshlrev_b64 v[0:1], 1, v[2:3]
	v_mul_lo_u32 v7, s25, v23
	v_mul_lo_u32 v4, s24, v4
	v_mad_u64_u32 v[2:3], s[2:3], s24, v23, 0
	v_add_co_u32_e32 v0, vcc, v9, v0
	v_addc_co_u32_e32 v1, vcc, v5, v1, vcc
	v_add3_u32 v3, v3, v4, v7
	v_mul_lo_u32 v8, s27, v22
	v_mul_lo_u32 v6, s26, v6
	v_mad_u64_u32 v[4:5], s[2:3], s26, v22, 0
	v_lshlrev_b64 v[2:3], 1, v[2:3]
	v_mov_b32_e32 v7, s7
	v_add_co_u32_e32 v9, vcc, s6, v2
	v_add3_u32 v5, v5, v6, v8
	v_addc_co_u32_e32 v7, vcc, v7, v3, vcc
	v_lshlrev_b64 v[2:3], 1, v[4:5]
	v_cndmask_b32_e64 v4, 0, 1, s[0:1]
	v_add_co_u32_e32 v2, vcc, v9, v2
	s_mov_b32 s9, 0
	v_addc_co_u32_e32 v3, vcc, v7, v3, vcc
	s_lshl_b64 s[2:3], s[20:21], 1
	s_lshl_b64 s[4:5], s[22:23], 1
	s_lshl_b64 s[6:7], s[12:13], 1
	s_lshl_b64 s[12:13], s[14:15], 1
	v_cmp_ne_u32_e64 s[0:1], 1, v4
	s_branch .LBB11_45
.LBB11_44:                              ;   in Loop: Header=BB11_45 Depth=1
	v_mov_b32_e32 v4, s3
	v_add_co_u32_e32 v2, vcc, s2, v2
	v_addc_co_u32_e32 v3, vcc, v3, v4, vcc
	s_add_i32 s9, s9, 1
	v_mov_b32_e32 v4, s7
	v_add_co_u32_e32 v0, vcc, s6, v0
	s_cmp_eq_u32 s9, s8
	v_addc_co_u32_e32 v1, vcc, v1, v4, vcc
	s_cbranch_scc1 .LBB11_47
.LBB11_45:                              ; =>This Loop Header: Depth=1
                                        ;     Child Loop BB11_46 Depth 2
	v_mov_b32_e32 v5, v1
	v_mov_b32_e32 v7, v3
	s_and_b64 vcc, exec, s[0:1]
	v_mov_b32_e32 v4, v0
	v_mov_b32_e32 v6, v2
	s_mov_b32 s11, s10
	s_cbranch_vccnz .LBB11_44
.LBB11_46:                              ;   Parent Loop BB11_45 Depth=1
                                        ; =>  This Inner Loop Header: Depth=2
	global_load_ushort v8, v[4:5], off
	v_mov_b32_e32 v10, s13
	v_add_co_u32_e32 v4, vcc, s12, v4
	v_addc_co_u32_e32 v5, vcc, v5, v10, vcc
	s_add_i32 s11, s11, -1
	v_mov_b32_e32 v9, s5
	s_cmp_eq_u32 s11, 0
	s_waitcnt vmcnt(0)
	global_store_short v[6:7], v8, off
	v_add_co_u32_e32 v6, vcc, s4, v6
	v_addc_co_u32_e32 v7, vcc, v7, v9, vcc
	s_cbranch_scc0 .LBB11_46
	s_branch .LBB11_44
.LBB11_47:
	s_endpgm
	.section	.rodata,"a",@progbits
	.p2align	6, 0x0
	.amdhsa_kernel _ZN2at6native12_GLOBAL__N_137upsample_bicubic2d_backward_out_frameIN3c108BFloat16EfEEviT0_S5_bN5torch10headeronly6detail27GenericPackedTensorAccessorINS8_14TensorAccessorINS3_8ArrayRefIlEET_Lm3ENS7_16DefaultPtrTraitsElEENS_6detail16IndexBoundsCheckILm4ElEESD_Lm4ESE_lEENS9_INSA_ISC_KSD_Lm3ESE_lEESI_SK_Lm4ESE_lEE
		.amdhsa_group_segment_fixed_size 0
		.amdhsa_private_segment_fixed_size 0
		.amdhsa_kernarg_size 416
		.amdhsa_user_sgpr_count 6
		.amdhsa_user_sgpr_private_segment_buffer 1
		.amdhsa_user_sgpr_dispatch_ptr 0
		.amdhsa_user_sgpr_queue_ptr 0
		.amdhsa_user_sgpr_kernarg_segment_ptr 1
		.amdhsa_user_sgpr_dispatch_id 0
		.amdhsa_user_sgpr_flat_scratch_init 0
		.amdhsa_user_sgpr_private_segment_size 0
		.amdhsa_uses_dynamic_stack 0
		.amdhsa_system_sgpr_private_segment_wavefront_offset 0
		.amdhsa_system_sgpr_workgroup_id_x 1
		.amdhsa_system_sgpr_workgroup_id_y 0
		.amdhsa_system_sgpr_workgroup_id_z 0
		.amdhsa_system_sgpr_workgroup_info 0
		.amdhsa_system_vgpr_workitem_id 0
		.amdhsa_next_free_vgpr 44
		.amdhsa_next_free_sgpr 32
		.amdhsa_reserve_vcc 1
		.amdhsa_reserve_flat_scratch 0
		.amdhsa_float_round_mode_32 0
		.amdhsa_float_round_mode_16_64 0
		.amdhsa_float_denorm_mode_32 3
		.amdhsa_float_denorm_mode_16_64 3
		.amdhsa_dx10_clamp 1
		.amdhsa_ieee_mode 1
		.amdhsa_fp16_overflow 0
		.amdhsa_exception_fp_ieee_invalid_op 0
		.amdhsa_exception_fp_denorm_src 0
		.amdhsa_exception_fp_ieee_div_zero 0
		.amdhsa_exception_fp_ieee_overflow 0
		.amdhsa_exception_fp_ieee_underflow 0
		.amdhsa_exception_fp_ieee_inexact 0
		.amdhsa_exception_int_div_zero 0
	.end_amdhsa_kernel
	.section	.text._ZN2at6native12_GLOBAL__N_137upsample_bicubic2d_backward_out_frameIN3c108BFloat16EfEEviT0_S5_bN5torch10headeronly6detail27GenericPackedTensorAccessorINS8_14TensorAccessorINS3_8ArrayRefIlEET_Lm3ENS7_16DefaultPtrTraitsElEENS_6detail16IndexBoundsCheckILm4ElEESD_Lm4ESE_lEENS9_INSA_ISC_KSD_Lm3ESE_lEESI_SK_Lm4ESE_lEE,"axG",@progbits,_ZN2at6native12_GLOBAL__N_137upsample_bicubic2d_backward_out_frameIN3c108BFloat16EfEEviT0_S5_bN5torch10headeronly6detail27GenericPackedTensorAccessorINS8_14TensorAccessorINS3_8ArrayRefIlEET_Lm3ENS7_16DefaultPtrTraitsElEENS_6detail16IndexBoundsCheckILm4ElEESD_Lm4ESE_lEENS9_INSA_ISC_KSD_Lm3ESE_lEESI_SK_Lm4ESE_lEE,comdat
.Lfunc_end11:
	.size	_ZN2at6native12_GLOBAL__N_137upsample_bicubic2d_backward_out_frameIN3c108BFloat16EfEEviT0_S5_bN5torch10headeronly6detail27GenericPackedTensorAccessorINS8_14TensorAccessorINS3_8ArrayRefIlEET_Lm3ENS7_16DefaultPtrTraitsElEENS_6detail16IndexBoundsCheckILm4ElEESD_Lm4ESE_lEENS9_INSA_ISC_KSD_Lm3ESE_lEESI_SK_Lm4ESE_lEE, .Lfunc_end11-_ZN2at6native12_GLOBAL__N_137upsample_bicubic2d_backward_out_frameIN3c108BFloat16EfEEviT0_S5_bN5torch10headeronly6detail27GenericPackedTensorAccessorINS8_14TensorAccessorINS3_8ArrayRefIlEET_Lm3ENS7_16DefaultPtrTraitsElEENS_6detail16IndexBoundsCheckILm4ElEESD_Lm4ESE_lEENS9_INSA_ISC_KSD_Lm3ESE_lEESI_SK_Lm4ESE_lEE
                                        ; -- End function
	.set _ZN2at6native12_GLOBAL__N_137upsample_bicubic2d_backward_out_frameIN3c108BFloat16EfEEviT0_S5_bN5torch10headeronly6detail27GenericPackedTensorAccessorINS8_14TensorAccessorINS3_8ArrayRefIlEET_Lm3ENS7_16DefaultPtrTraitsElEENS_6detail16IndexBoundsCheckILm4ElEESD_Lm4ESE_lEENS9_INSA_ISC_KSD_Lm3ESE_lEESI_SK_Lm4ESE_lEE.num_vgpr, 44
	.set _ZN2at6native12_GLOBAL__N_137upsample_bicubic2d_backward_out_frameIN3c108BFloat16EfEEviT0_S5_bN5torch10headeronly6detail27GenericPackedTensorAccessorINS8_14TensorAccessorINS3_8ArrayRefIlEET_Lm3ENS7_16DefaultPtrTraitsElEENS_6detail16IndexBoundsCheckILm4ElEESD_Lm4ESE_lEENS9_INSA_ISC_KSD_Lm3ESE_lEESI_SK_Lm4ESE_lEE.num_agpr, 0
	.set _ZN2at6native12_GLOBAL__N_137upsample_bicubic2d_backward_out_frameIN3c108BFloat16EfEEviT0_S5_bN5torch10headeronly6detail27GenericPackedTensorAccessorINS8_14TensorAccessorINS3_8ArrayRefIlEET_Lm3ENS7_16DefaultPtrTraitsElEENS_6detail16IndexBoundsCheckILm4ElEESD_Lm4ESE_lEENS9_INSA_ISC_KSD_Lm3ESE_lEESI_SK_Lm4ESE_lEE.numbered_sgpr, 32
	.set _ZN2at6native12_GLOBAL__N_137upsample_bicubic2d_backward_out_frameIN3c108BFloat16EfEEviT0_S5_bN5torch10headeronly6detail27GenericPackedTensorAccessorINS8_14TensorAccessorINS3_8ArrayRefIlEET_Lm3ENS7_16DefaultPtrTraitsElEENS_6detail16IndexBoundsCheckILm4ElEESD_Lm4ESE_lEENS9_INSA_ISC_KSD_Lm3ESE_lEESI_SK_Lm4ESE_lEE.num_named_barrier, 0
	.set _ZN2at6native12_GLOBAL__N_137upsample_bicubic2d_backward_out_frameIN3c108BFloat16EfEEviT0_S5_bN5torch10headeronly6detail27GenericPackedTensorAccessorINS8_14TensorAccessorINS3_8ArrayRefIlEET_Lm3ENS7_16DefaultPtrTraitsElEENS_6detail16IndexBoundsCheckILm4ElEESD_Lm4ESE_lEENS9_INSA_ISC_KSD_Lm3ESE_lEESI_SK_Lm4ESE_lEE.private_seg_size, 0
	.set _ZN2at6native12_GLOBAL__N_137upsample_bicubic2d_backward_out_frameIN3c108BFloat16EfEEviT0_S5_bN5torch10headeronly6detail27GenericPackedTensorAccessorINS8_14TensorAccessorINS3_8ArrayRefIlEET_Lm3ENS7_16DefaultPtrTraitsElEENS_6detail16IndexBoundsCheckILm4ElEESD_Lm4ESE_lEENS9_INSA_ISC_KSD_Lm3ESE_lEESI_SK_Lm4ESE_lEE.uses_vcc, 1
	.set _ZN2at6native12_GLOBAL__N_137upsample_bicubic2d_backward_out_frameIN3c108BFloat16EfEEviT0_S5_bN5torch10headeronly6detail27GenericPackedTensorAccessorINS8_14TensorAccessorINS3_8ArrayRefIlEET_Lm3ENS7_16DefaultPtrTraitsElEENS_6detail16IndexBoundsCheckILm4ElEESD_Lm4ESE_lEENS9_INSA_ISC_KSD_Lm3ESE_lEESI_SK_Lm4ESE_lEE.uses_flat_scratch, 0
	.set _ZN2at6native12_GLOBAL__N_137upsample_bicubic2d_backward_out_frameIN3c108BFloat16EfEEviT0_S5_bN5torch10headeronly6detail27GenericPackedTensorAccessorINS8_14TensorAccessorINS3_8ArrayRefIlEET_Lm3ENS7_16DefaultPtrTraitsElEENS_6detail16IndexBoundsCheckILm4ElEESD_Lm4ESE_lEENS9_INSA_ISC_KSD_Lm3ESE_lEESI_SK_Lm4ESE_lEE.has_dyn_sized_stack, 0
	.set _ZN2at6native12_GLOBAL__N_137upsample_bicubic2d_backward_out_frameIN3c108BFloat16EfEEviT0_S5_bN5torch10headeronly6detail27GenericPackedTensorAccessorINS8_14TensorAccessorINS3_8ArrayRefIlEET_Lm3ENS7_16DefaultPtrTraitsElEENS_6detail16IndexBoundsCheckILm4ElEESD_Lm4ESE_lEENS9_INSA_ISC_KSD_Lm3ESE_lEESI_SK_Lm4ESE_lEE.has_recursion, 0
	.set _ZN2at6native12_GLOBAL__N_137upsample_bicubic2d_backward_out_frameIN3c108BFloat16EfEEviT0_S5_bN5torch10headeronly6detail27GenericPackedTensorAccessorINS8_14TensorAccessorINS3_8ArrayRefIlEET_Lm3ENS7_16DefaultPtrTraitsElEENS_6detail16IndexBoundsCheckILm4ElEESD_Lm4ESE_lEENS9_INSA_ISC_KSD_Lm3ESE_lEESI_SK_Lm4ESE_lEE.has_indirect_call, 0
	.section	.AMDGPU.csdata,"",@progbits
; Kernel info:
; codeLenInByte = 5100
; TotalNumSgprs: 36
; NumVgprs: 44
; ScratchSize: 0
; MemoryBound: 0
; FloatMode: 240
; IeeeMode: 1
; LDSByteSize: 0 bytes/workgroup (compile time only)
; SGPRBlocks: 4
; VGPRBlocks: 10
; NumSGPRsForWavesPerEU: 36
; NumVGPRsForWavesPerEU: 44
; Occupancy: 5
; WaveLimiterHint : 1
; COMPUTE_PGM_RSRC2:SCRATCH_EN: 0
; COMPUTE_PGM_RSRC2:USER_SGPR: 6
; COMPUTE_PGM_RSRC2:TRAP_HANDLER: 0
; COMPUTE_PGM_RSRC2:TGID_X_EN: 1
; COMPUTE_PGM_RSRC2:TGID_Y_EN: 0
; COMPUTE_PGM_RSRC2:TGID_Z_EN: 0
; COMPUTE_PGM_RSRC2:TIDIG_COMP_CNT: 0
	.section	.AMDGPU.gpr_maximums,"",@progbits
	.set amdgpu.max_num_vgpr, 0
	.set amdgpu.max_num_agpr, 0
	.set amdgpu.max_num_sgpr, 0
	.section	.AMDGPU.csdata,"",@progbits
	.type	__hip_cuid_2f032c5a51d26ea6,@object ; @__hip_cuid_2f032c5a51d26ea6
	.section	.bss,"aw",@nobits
	.globl	__hip_cuid_2f032c5a51d26ea6
__hip_cuid_2f032c5a51d26ea6:
	.byte	0                               ; 0x0
	.size	__hip_cuid_2f032c5a51d26ea6, 1

	.ident	"AMD clang version 22.0.0git (https://github.com/RadeonOpenCompute/llvm-project roc-7.2.4 26084 f58b06dce1f9c15707c5f808fd002e18c2accf7e)"
	.section	".note.GNU-stack","",@progbits
	.addrsig
	.addrsig_sym __hip_cuid_2f032c5a51d26ea6
	.amdgpu_metadata
---
amdhsa.kernels:
  - .args:
      - .offset:         0
        .size:           4
        .value_kind:     by_value
      - .offset:         8
        .size:           8
        .value_kind:     by_value
      - .offset:         16
        .size:           8
        .value_kind:     by_value
      - .offset:         24
        .size:           1
        .value_kind:     by_value
      - .offset:         32
        .size:           72
        .value_kind:     by_value
      - .offset:         104
        .size:           72
        .value_kind:     by_value
      - .offset:         176
        .size:           4
        .value_kind:     hidden_block_count_x
      - .offset:         180
        .size:           4
        .value_kind:     hidden_block_count_y
      - .offset:         184
        .size:           4
        .value_kind:     hidden_block_count_z
      - .offset:         188
        .size:           2
        .value_kind:     hidden_group_size_x
      - .offset:         190
        .size:           2
        .value_kind:     hidden_group_size_y
      - .offset:         192
        .size:           2
        .value_kind:     hidden_group_size_z
      - .offset:         194
        .size:           2
        .value_kind:     hidden_remainder_x
      - .offset:         196
        .size:           2
        .value_kind:     hidden_remainder_y
      - .offset:         198
        .size:           2
        .value_kind:     hidden_remainder_z
      - .offset:         216
        .size:           8
        .value_kind:     hidden_global_offset_x
      - .offset:         224
        .size:           8
        .value_kind:     hidden_global_offset_y
      - .offset:         232
        .size:           8
        .value_kind:     hidden_global_offset_z
      - .offset:         240
        .size:           2
        .value_kind:     hidden_grid_dims
    .group_segment_fixed_size: 0
    .kernarg_segment_align: 8
    .kernarg_segment_size: 432
    .language:       OpenCL C
    .language_version:
      - 2
      - 0
    .max_flat_workgroup_size: 1024
    .name:           _ZN2at6native12_GLOBAL__N_137upsample_bicubic2d_out_frame_parallelIddEEviT0_S3_bN5torch10headeronly6detail27GenericPackedTensorAccessorINS6_14TensorAccessorIN3c108ArrayRefIlEEKT_Lm3ENS5_16DefaultPtrTraitsElEENS_6detail16IndexBoundsCheckILm4ElEESD_Lm4ESE_lEENS7_INS8_ISB_SC_Lm3ESE_lEESI_SC_Lm4ESE_lEE
    .private_segment_fixed_size: 0
    .sgpr_count:     40
    .sgpr_spill_count: 0
    .symbol:         _ZN2at6native12_GLOBAL__N_137upsample_bicubic2d_out_frame_parallelIddEEviT0_S3_bN5torch10headeronly6detail27GenericPackedTensorAccessorINS6_14TensorAccessorIN3c108ArrayRefIlEEKT_Lm3ENS5_16DefaultPtrTraitsElEENS_6detail16IndexBoundsCheckILm4ElEESD_Lm4ESE_lEENS7_INS8_ISB_SC_Lm3ESE_lEESI_SC_Lm4ESE_lEE.kd
    .uniform_work_group_size: 1
    .uses_dynamic_stack: false
    .vgpr_count:     56
    .vgpr_spill_count: 0
    .wavefront_size: 64
  - .args:
      - .offset:         0
        .size:           4
        .value_kind:     by_value
      - .offset:         8
        .size:           8
        .value_kind:     by_value
      - .offset:         16
        .size:           8
        .value_kind:     by_value
      - .offset:         24
        .size:           1
        .value_kind:     by_value
      - .offset:         32
        .size:           72
        .value_kind:     by_value
      - .offset:         104
        .size:           72
        .value_kind:     by_value
      - .offset:         176
        .size:           4
        .value_kind:     hidden_block_count_x
      - .offset:         180
        .size:           4
        .value_kind:     hidden_block_count_y
      - .offset:         184
        .size:           4
        .value_kind:     hidden_block_count_z
      - .offset:         188
        .size:           2
        .value_kind:     hidden_group_size_x
      - .offset:         190
        .size:           2
        .value_kind:     hidden_group_size_y
      - .offset:         192
        .size:           2
        .value_kind:     hidden_group_size_z
      - .offset:         194
        .size:           2
        .value_kind:     hidden_remainder_x
      - .offset:         196
        .size:           2
        .value_kind:     hidden_remainder_y
      - .offset:         198
        .size:           2
        .value_kind:     hidden_remainder_z
      - .offset:         216
        .size:           8
        .value_kind:     hidden_global_offset_x
      - .offset:         224
        .size:           8
        .value_kind:     hidden_global_offset_y
      - .offset:         232
        .size:           8
        .value_kind:     hidden_global_offset_z
      - .offset:         240
        .size:           2
        .value_kind:     hidden_grid_dims
    .group_segment_fixed_size: 0
    .kernarg_segment_align: 8
    .kernarg_segment_size: 432
    .language:       OpenCL C
    .language_version:
      - 2
      - 0
    .max_flat_workgroup_size: 1024
    .name:           _ZN2at6native12_GLOBAL__N_128upsample_bicubic2d_out_frameIddEEviT0_S3_bN5torch10headeronly6detail27GenericPackedTensorAccessorINS6_14TensorAccessorIN3c108ArrayRefIlEEKT_Lm3ENS5_16DefaultPtrTraitsElEENS_6detail16IndexBoundsCheckILm4ElEESD_Lm4ESE_lEENS7_INS8_ISB_SC_Lm3ESE_lEESI_SC_Lm4ESE_lEE
    .private_segment_fixed_size: 8
    .sgpr_count:     44
    .sgpr_spill_count: 0
    .symbol:         _ZN2at6native12_GLOBAL__N_128upsample_bicubic2d_out_frameIddEEviT0_S3_bN5torch10headeronly6detail27GenericPackedTensorAccessorINS6_14TensorAccessorIN3c108ArrayRefIlEEKT_Lm3ENS5_16DefaultPtrTraitsElEENS_6detail16IndexBoundsCheckILm4ElEESD_Lm4ESE_lEENS7_INS8_ISB_SC_Lm3ESE_lEESI_SC_Lm4ESE_lEE.kd
    .uniform_work_group_size: 1
    .uses_dynamic_stack: false
    .vgpr_count:     64
    .vgpr_spill_count: 1
    .wavefront_size: 64
  - .args:
      - .offset:         0
        .size:           4
        .value_kind:     by_value
      - .offset:         4
        .size:           4
        .value_kind:     by_value
      - .offset:         8
        .size:           4
        .value_kind:     by_value
      - .offset:         12
        .size:           1
        .value_kind:     by_value
      - .offset:         16
        .size:           72
        .value_kind:     by_value
      - .offset:         88
        .size:           72
        .value_kind:     by_value
      - .offset:         160
        .size:           4
        .value_kind:     hidden_block_count_x
      - .offset:         164
        .size:           4
        .value_kind:     hidden_block_count_y
      - .offset:         168
        .size:           4
        .value_kind:     hidden_block_count_z
      - .offset:         172
        .size:           2
        .value_kind:     hidden_group_size_x
      - .offset:         174
        .size:           2
        .value_kind:     hidden_group_size_y
      - .offset:         176
        .size:           2
        .value_kind:     hidden_group_size_z
      - .offset:         178
        .size:           2
        .value_kind:     hidden_remainder_x
      - .offset:         180
        .size:           2
        .value_kind:     hidden_remainder_y
      - .offset:         182
        .size:           2
        .value_kind:     hidden_remainder_z
      - .offset:         200
        .size:           8
        .value_kind:     hidden_global_offset_x
      - .offset:         208
        .size:           8
        .value_kind:     hidden_global_offset_y
      - .offset:         216
        .size:           8
        .value_kind:     hidden_global_offset_z
      - .offset:         224
        .size:           2
        .value_kind:     hidden_grid_dims
    .group_segment_fixed_size: 0
    .kernarg_segment_align: 8
    .kernarg_segment_size: 416
    .language:       OpenCL C
    .language_version:
      - 2
      - 0
    .max_flat_workgroup_size: 1024
    .name:           _ZN2at6native12_GLOBAL__N_137upsample_bicubic2d_out_frame_parallelIffEEviT0_S3_bN5torch10headeronly6detail27GenericPackedTensorAccessorINS6_14TensorAccessorIN3c108ArrayRefIlEEKT_Lm3ENS5_16DefaultPtrTraitsElEENS_6detail16IndexBoundsCheckILm4ElEESD_Lm4ESE_lEENS7_INS8_ISB_SC_Lm3ESE_lEESI_SC_Lm4ESE_lEE
    .private_segment_fixed_size: 0
    .sgpr_count:     60
    .sgpr_spill_count: 0
    .symbol:         _ZN2at6native12_GLOBAL__N_137upsample_bicubic2d_out_frame_parallelIffEEviT0_S3_bN5torch10headeronly6detail27GenericPackedTensorAccessorINS6_14TensorAccessorIN3c108ArrayRefIlEEKT_Lm3ENS5_16DefaultPtrTraitsElEENS_6detail16IndexBoundsCheckILm4ElEESD_Lm4ESE_lEENS7_INS8_ISB_SC_Lm3ESE_lEESI_SC_Lm4ESE_lEE.kd
    .uniform_work_group_size: 1
    .uses_dynamic_stack: false
    .vgpr_count:     63
    .vgpr_spill_count: 0
    .wavefront_size: 64
  - .args:
      - .offset:         0
        .size:           4
        .value_kind:     by_value
      - .offset:         4
        .size:           4
        .value_kind:     by_value
      - .offset:         8
        .size:           4
        .value_kind:     by_value
      - .offset:         12
        .size:           1
        .value_kind:     by_value
      - .offset:         16
        .size:           72
        .value_kind:     by_value
      - .offset:         88
        .size:           72
        .value_kind:     by_value
      - .offset:         160
        .size:           4
        .value_kind:     hidden_block_count_x
      - .offset:         164
        .size:           4
        .value_kind:     hidden_block_count_y
      - .offset:         168
        .size:           4
        .value_kind:     hidden_block_count_z
      - .offset:         172
        .size:           2
        .value_kind:     hidden_group_size_x
      - .offset:         174
        .size:           2
        .value_kind:     hidden_group_size_y
      - .offset:         176
        .size:           2
        .value_kind:     hidden_group_size_z
      - .offset:         178
        .size:           2
        .value_kind:     hidden_remainder_x
      - .offset:         180
        .size:           2
        .value_kind:     hidden_remainder_y
      - .offset:         182
        .size:           2
        .value_kind:     hidden_remainder_z
      - .offset:         200
        .size:           8
        .value_kind:     hidden_global_offset_x
      - .offset:         208
        .size:           8
        .value_kind:     hidden_global_offset_y
      - .offset:         216
        .size:           8
        .value_kind:     hidden_global_offset_z
      - .offset:         224
        .size:           2
        .value_kind:     hidden_grid_dims
    .group_segment_fixed_size: 0
    .kernarg_segment_align: 8
    .kernarg_segment_size: 416
    .language:       OpenCL C
    .language_version:
      - 2
      - 0
    .max_flat_workgroup_size: 1024
    .name:           _ZN2at6native12_GLOBAL__N_128upsample_bicubic2d_out_frameIffEEviT0_S3_bN5torch10headeronly6detail27GenericPackedTensorAccessorINS6_14TensorAccessorIN3c108ArrayRefIlEEKT_Lm3ENS5_16DefaultPtrTraitsElEENS_6detail16IndexBoundsCheckILm4ElEESD_Lm4ESE_lEENS7_INS8_ISB_SC_Lm3ESE_lEESI_SC_Lm4ESE_lEE
    .private_segment_fixed_size: 0
    .sgpr_count:     32
    .sgpr_spill_count: 0
    .symbol:         _ZN2at6native12_GLOBAL__N_128upsample_bicubic2d_out_frameIffEEviT0_S3_bN5torch10headeronly6detail27GenericPackedTensorAccessorINS6_14TensorAccessorIN3c108ArrayRefIlEEKT_Lm3ENS5_16DefaultPtrTraitsElEENS_6detail16IndexBoundsCheckILm4ElEESD_Lm4ESE_lEENS7_INS8_ISB_SC_Lm3ESE_lEESI_SC_Lm4ESE_lEE.kd
    .uniform_work_group_size: 1
    .uses_dynamic_stack: false
    .vgpr_count:     55
    .vgpr_spill_count: 0
    .wavefront_size: 64
  - .args:
      - .offset:         0
        .size:           4
        .value_kind:     by_value
      - .offset:         4
        .size:           4
        .value_kind:     by_value
      - .offset:         8
        .size:           4
        .value_kind:     by_value
      - .offset:         12
        .size:           1
        .value_kind:     by_value
      - .offset:         16
        .size:           72
        .value_kind:     by_value
      - .offset:         88
        .size:           72
        .value_kind:     by_value
      - .offset:         160
        .size:           4
        .value_kind:     hidden_block_count_x
      - .offset:         164
        .size:           4
        .value_kind:     hidden_block_count_y
      - .offset:         168
        .size:           4
        .value_kind:     hidden_block_count_z
      - .offset:         172
        .size:           2
        .value_kind:     hidden_group_size_x
      - .offset:         174
        .size:           2
        .value_kind:     hidden_group_size_y
      - .offset:         176
        .size:           2
        .value_kind:     hidden_group_size_z
      - .offset:         178
        .size:           2
        .value_kind:     hidden_remainder_x
      - .offset:         180
        .size:           2
        .value_kind:     hidden_remainder_y
      - .offset:         182
        .size:           2
        .value_kind:     hidden_remainder_z
      - .offset:         200
        .size:           8
        .value_kind:     hidden_global_offset_x
      - .offset:         208
        .size:           8
        .value_kind:     hidden_global_offset_y
      - .offset:         216
        .size:           8
        .value_kind:     hidden_global_offset_z
      - .offset:         224
        .size:           2
        .value_kind:     hidden_grid_dims
    .group_segment_fixed_size: 0
    .kernarg_segment_align: 8
    .kernarg_segment_size: 416
    .language:       OpenCL C
    .language_version:
      - 2
      - 0
    .max_flat_workgroup_size: 1024
    .name:           _ZN2at6native12_GLOBAL__N_137upsample_bicubic2d_out_frame_parallelIN3c104HalfEfEEviT0_S5_bN5torch10headeronly6detail27GenericPackedTensorAccessorINS8_14TensorAccessorINS3_8ArrayRefIlEEKT_Lm3ENS7_16DefaultPtrTraitsElEENS_6detail16IndexBoundsCheckILm4ElEESE_Lm4ESF_lEENS9_INSA_ISC_SD_Lm3ESF_lEESJ_SD_Lm4ESF_lEE
    .private_segment_fixed_size: 0
    .sgpr_count:     60
    .sgpr_spill_count: 0
    .symbol:         _ZN2at6native12_GLOBAL__N_137upsample_bicubic2d_out_frame_parallelIN3c104HalfEfEEviT0_S5_bN5torch10headeronly6detail27GenericPackedTensorAccessorINS8_14TensorAccessorINS3_8ArrayRefIlEEKT_Lm3ENS7_16DefaultPtrTraitsElEENS_6detail16IndexBoundsCheckILm4ElEESE_Lm4ESF_lEENS9_INSA_ISC_SD_Lm3ESF_lEESJ_SD_Lm4ESF_lEE.kd
    .uniform_work_group_size: 1
    .uses_dynamic_stack: false
    .vgpr_count:     62
    .vgpr_spill_count: 0
    .wavefront_size: 64
  - .args:
      - .offset:         0
        .size:           4
        .value_kind:     by_value
      - .offset:         4
        .size:           4
        .value_kind:     by_value
      - .offset:         8
        .size:           4
        .value_kind:     by_value
      - .offset:         12
        .size:           1
        .value_kind:     by_value
      - .offset:         16
        .size:           72
        .value_kind:     by_value
      - .offset:         88
        .size:           72
        .value_kind:     by_value
      - .offset:         160
        .size:           4
        .value_kind:     hidden_block_count_x
      - .offset:         164
        .size:           4
        .value_kind:     hidden_block_count_y
      - .offset:         168
        .size:           4
        .value_kind:     hidden_block_count_z
      - .offset:         172
        .size:           2
        .value_kind:     hidden_group_size_x
      - .offset:         174
        .size:           2
        .value_kind:     hidden_group_size_y
      - .offset:         176
        .size:           2
        .value_kind:     hidden_group_size_z
      - .offset:         178
        .size:           2
        .value_kind:     hidden_remainder_x
      - .offset:         180
        .size:           2
        .value_kind:     hidden_remainder_y
      - .offset:         182
        .size:           2
        .value_kind:     hidden_remainder_z
      - .offset:         200
        .size:           8
        .value_kind:     hidden_global_offset_x
      - .offset:         208
        .size:           8
        .value_kind:     hidden_global_offset_y
      - .offset:         216
        .size:           8
        .value_kind:     hidden_global_offset_z
      - .offset:         224
        .size:           2
        .value_kind:     hidden_grid_dims
    .group_segment_fixed_size: 0
    .kernarg_segment_align: 8
    .kernarg_segment_size: 416
    .language:       OpenCL C
    .language_version:
      - 2
      - 0
    .max_flat_workgroup_size: 1024
    .name:           _ZN2at6native12_GLOBAL__N_128upsample_bicubic2d_out_frameIN3c104HalfEfEEviT0_S5_bN5torch10headeronly6detail27GenericPackedTensorAccessorINS8_14TensorAccessorINS3_8ArrayRefIlEEKT_Lm3ENS7_16DefaultPtrTraitsElEENS_6detail16IndexBoundsCheckILm4ElEESE_Lm4ESF_lEENS9_INSA_ISC_SD_Lm3ESF_lEESJ_SD_Lm4ESF_lEE
    .private_segment_fixed_size: 0
    .sgpr_count:     32
    .sgpr_spill_count: 0
    .symbol:         _ZN2at6native12_GLOBAL__N_128upsample_bicubic2d_out_frameIN3c104HalfEfEEviT0_S5_bN5torch10headeronly6detail27GenericPackedTensorAccessorINS8_14TensorAccessorINS3_8ArrayRefIlEEKT_Lm3ENS7_16DefaultPtrTraitsElEENS_6detail16IndexBoundsCheckILm4ElEESE_Lm4ESF_lEENS9_INSA_ISC_SD_Lm3ESF_lEESJ_SD_Lm4ESF_lEE.kd
    .uniform_work_group_size: 1
    .uses_dynamic_stack: false
    .vgpr_count:     55
    .vgpr_spill_count: 0
    .wavefront_size: 64
  - .args:
      - .offset:         0
        .size:           4
        .value_kind:     by_value
      - .offset:         4
        .size:           4
        .value_kind:     by_value
      - .offset:         8
        .size:           4
        .value_kind:     by_value
      - .offset:         12
        .size:           1
        .value_kind:     by_value
      - .offset:         16
        .size:           72
        .value_kind:     by_value
      - .offset:         88
        .size:           72
        .value_kind:     by_value
      - .offset:         160
        .size:           4
        .value_kind:     hidden_block_count_x
      - .offset:         164
        .size:           4
        .value_kind:     hidden_block_count_y
      - .offset:         168
        .size:           4
        .value_kind:     hidden_block_count_z
      - .offset:         172
        .size:           2
        .value_kind:     hidden_group_size_x
      - .offset:         174
        .size:           2
        .value_kind:     hidden_group_size_y
      - .offset:         176
        .size:           2
        .value_kind:     hidden_group_size_z
      - .offset:         178
        .size:           2
        .value_kind:     hidden_remainder_x
      - .offset:         180
        .size:           2
        .value_kind:     hidden_remainder_y
      - .offset:         182
        .size:           2
        .value_kind:     hidden_remainder_z
      - .offset:         200
        .size:           8
        .value_kind:     hidden_global_offset_x
      - .offset:         208
        .size:           8
        .value_kind:     hidden_global_offset_y
      - .offset:         216
        .size:           8
        .value_kind:     hidden_global_offset_z
      - .offset:         224
        .size:           2
        .value_kind:     hidden_grid_dims
    .group_segment_fixed_size: 0
    .kernarg_segment_align: 8
    .kernarg_segment_size: 416
    .language:       OpenCL C
    .language_version:
      - 2
      - 0
    .max_flat_workgroup_size: 1024
    .name:           _ZN2at6native12_GLOBAL__N_137upsample_bicubic2d_out_frame_parallelIN3c108BFloat16EfEEviT0_S5_bN5torch10headeronly6detail27GenericPackedTensorAccessorINS8_14TensorAccessorINS3_8ArrayRefIlEEKT_Lm3ENS7_16DefaultPtrTraitsElEENS_6detail16IndexBoundsCheckILm4ElEESE_Lm4ESF_lEENS9_INSA_ISC_SD_Lm3ESF_lEESJ_SD_Lm4ESF_lEE
    .private_segment_fixed_size: 0
    .sgpr_count:     41
    .sgpr_spill_count: 0
    .symbol:         _ZN2at6native12_GLOBAL__N_137upsample_bicubic2d_out_frame_parallelIN3c108BFloat16EfEEviT0_S5_bN5torch10headeronly6detail27GenericPackedTensorAccessorINS8_14TensorAccessorINS3_8ArrayRefIlEEKT_Lm3ENS7_16DefaultPtrTraitsElEENS_6detail16IndexBoundsCheckILm4ElEESE_Lm4ESF_lEENS9_INSA_ISC_SD_Lm3ESF_lEESJ_SD_Lm4ESF_lEE.kd
    .uniform_work_group_size: 1
    .uses_dynamic_stack: false
    .vgpr_count:     55
    .vgpr_spill_count: 0
    .wavefront_size: 64
  - .args:
      - .offset:         0
        .size:           4
        .value_kind:     by_value
      - .offset:         4
        .size:           4
        .value_kind:     by_value
      - .offset:         8
        .size:           4
        .value_kind:     by_value
      - .offset:         12
        .size:           1
        .value_kind:     by_value
      - .offset:         16
        .size:           72
        .value_kind:     by_value
      - .offset:         88
        .size:           72
        .value_kind:     by_value
      - .offset:         160
        .size:           4
        .value_kind:     hidden_block_count_x
      - .offset:         164
        .size:           4
        .value_kind:     hidden_block_count_y
      - .offset:         168
        .size:           4
        .value_kind:     hidden_block_count_z
      - .offset:         172
        .size:           2
        .value_kind:     hidden_group_size_x
      - .offset:         174
        .size:           2
        .value_kind:     hidden_group_size_y
      - .offset:         176
        .size:           2
        .value_kind:     hidden_group_size_z
      - .offset:         178
        .size:           2
        .value_kind:     hidden_remainder_x
      - .offset:         180
        .size:           2
        .value_kind:     hidden_remainder_y
      - .offset:         182
        .size:           2
        .value_kind:     hidden_remainder_z
      - .offset:         200
        .size:           8
        .value_kind:     hidden_global_offset_x
      - .offset:         208
        .size:           8
        .value_kind:     hidden_global_offset_y
      - .offset:         216
        .size:           8
        .value_kind:     hidden_global_offset_z
      - .offset:         224
        .size:           2
        .value_kind:     hidden_grid_dims
    .group_segment_fixed_size: 0
    .kernarg_segment_align: 8
    .kernarg_segment_size: 416
    .language:       OpenCL C
    .language_version:
      - 2
      - 0
    .max_flat_workgroup_size: 1024
    .name:           _ZN2at6native12_GLOBAL__N_128upsample_bicubic2d_out_frameIN3c108BFloat16EfEEviT0_S5_bN5torch10headeronly6detail27GenericPackedTensorAccessorINS8_14TensorAccessorINS3_8ArrayRefIlEEKT_Lm3ENS7_16DefaultPtrTraitsElEENS_6detail16IndexBoundsCheckILm4ElEESE_Lm4ESF_lEENS9_INSA_ISC_SD_Lm3ESF_lEESJ_SD_Lm4ESF_lEE
    .private_segment_fixed_size: 32
    .sgpr_count:     44
    .sgpr_spill_count: 0
    .symbol:         _ZN2at6native12_GLOBAL__N_128upsample_bicubic2d_out_frameIN3c108BFloat16EfEEviT0_S5_bN5torch10headeronly6detail27GenericPackedTensorAccessorINS8_14TensorAccessorINS3_8ArrayRefIlEEKT_Lm3ENS7_16DefaultPtrTraitsElEENS_6detail16IndexBoundsCheckILm4ElEESE_Lm4ESF_lEENS9_INSA_ISC_SD_Lm3ESF_lEESJ_SD_Lm4ESF_lEE.kd
    .uniform_work_group_size: 1
    .uses_dynamic_stack: false
    .vgpr_count:     64
    .vgpr_spill_count: 7
    .wavefront_size: 64
  - .args:
      - .offset:         0
        .size:           4
        .value_kind:     by_value
      - .offset:         8
        .size:           8
        .value_kind:     by_value
      - .offset:         16
        .size:           8
        .value_kind:     by_value
      - .offset:         24
        .size:           1
        .value_kind:     by_value
      - .offset:         32
        .size:           72
        .value_kind:     by_value
      - .offset:         104
        .size:           72
        .value_kind:     by_value
      - .offset:         176
        .size:           4
        .value_kind:     hidden_block_count_x
      - .offset:         180
        .size:           4
        .value_kind:     hidden_block_count_y
      - .offset:         184
        .size:           4
        .value_kind:     hidden_block_count_z
      - .offset:         188
        .size:           2
        .value_kind:     hidden_group_size_x
      - .offset:         190
        .size:           2
        .value_kind:     hidden_group_size_y
      - .offset:         192
        .size:           2
        .value_kind:     hidden_group_size_z
      - .offset:         194
        .size:           2
        .value_kind:     hidden_remainder_x
      - .offset:         196
        .size:           2
        .value_kind:     hidden_remainder_y
      - .offset:         198
        .size:           2
        .value_kind:     hidden_remainder_z
      - .offset:         216
        .size:           8
        .value_kind:     hidden_global_offset_x
      - .offset:         224
        .size:           8
        .value_kind:     hidden_global_offset_y
      - .offset:         232
        .size:           8
        .value_kind:     hidden_global_offset_z
      - .offset:         240
        .size:           2
        .value_kind:     hidden_grid_dims
    .group_segment_fixed_size: 0
    .kernarg_segment_align: 8
    .kernarg_segment_size: 432
    .language:       OpenCL C
    .language_version:
      - 2
      - 0
    .max_flat_workgroup_size: 1024
    .name:           _ZN2at6native12_GLOBAL__N_137upsample_bicubic2d_backward_out_frameIddEEviT0_S3_bN5torch10headeronly6detail27GenericPackedTensorAccessorINS6_14TensorAccessorIN3c108ArrayRefIlEET_Lm3ENS5_16DefaultPtrTraitsElEENS_6detail16IndexBoundsCheckILm4ElEESC_Lm4ESD_lEENS7_INS8_ISB_KSC_Lm3ESD_lEESH_SJ_Lm4ESD_lEE
    .private_segment_fixed_size: 0
    .sgpr_count:     32
    .sgpr_spill_count: 0
    .symbol:         _ZN2at6native12_GLOBAL__N_137upsample_bicubic2d_backward_out_frameIddEEviT0_S3_bN5torch10headeronly6detail27GenericPackedTensorAccessorINS6_14TensorAccessorIN3c108ArrayRefIlEET_Lm3ENS5_16DefaultPtrTraitsElEENS_6detail16IndexBoundsCheckILm4ElEESC_Lm4ESD_lEENS7_INS8_ISB_KSC_Lm3ESD_lEESH_SJ_Lm4ESD_lEE.kd
    .uniform_work_group_size: 1
    .uses_dynamic_stack: false
    .vgpr_count:     52
    .vgpr_spill_count: 0
    .wavefront_size: 64
  - .args:
      - .offset:         0
        .size:           4
        .value_kind:     by_value
      - .offset:         4
        .size:           4
        .value_kind:     by_value
      - .offset:         8
        .size:           4
        .value_kind:     by_value
      - .offset:         12
        .size:           1
        .value_kind:     by_value
      - .offset:         16
        .size:           72
        .value_kind:     by_value
      - .offset:         88
        .size:           72
        .value_kind:     by_value
      - .offset:         160
        .size:           4
        .value_kind:     hidden_block_count_x
      - .offset:         164
        .size:           4
        .value_kind:     hidden_block_count_y
      - .offset:         168
        .size:           4
        .value_kind:     hidden_block_count_z
      - .offset:         172
        .size:           2
        .value_kind:     hidden_group_size_x
      - .offset:         174
        .size:           2
        .value_kind:     hidden_group_size_y
      - .offset:         176
        .size:           2
        .value_kind:     hidden_group_size_z
      - .offset:         178
        .size:           2
        .value_kind:     hidden_remainder_x
      - .offset:         180
        .size:           2
        .value_kind:     hidden_remainder_y
      - .offset:         182
        .size:           2
        .value_kind:     hidden_remainder_z
      - .offset:         200
        .size:           8
        .value_kind:     hidden_global_offset_x
      - .offset:         208
        .size:           8
        .value_kind:     hidden_global_offset_y
      - .offset:         216
        .size:           8
        .value_kind:     hidden_global_offset_z
      - .offset:         224
        .size:           2
        .value_kind:     hidden_grid_dims
    .group_segment_fixed_size: 0
    .kernarg_segment_align: 8
    .kernarg_segment_size: 416
    .language:       OpenCL C
    .language_version:
      - 2
      - 0
    .max_flat_workgroup_size: 1024
    .name:           _ZN2at6native12_GLOBAL__N_137upsample_bicubic2d_backward_out_frameIffEEviT0_S3_bN5torch10headeronly6detail27GenericPackedTensorAccessorINS6_14TensorAccessorIN3c108ArrayRefIlEET_Lm3ENS5_16DefaultPtrTraitsElEENS_6detail16IndexBoundsCheckILm4ElEESC_Lm4ESD_lEENS7_INS8_ISB_KSC_Lm3ESD_lEESH_SJ_Lm4ESD_lEE
    .private_segment_fixed_size: 0
    .sgpr_count:     36
    .sgpr_spill_count: 0
    .symbol:         _ZN2at6native12_GLOBAL__N_137upsample_bicubic2d_backward_out_frameIffEEviT0_S3_bN5torch10headeronly6detail27GenericPackedTensorAccessorINS6_14TensorAccessorIN3c108ArrayRefIlEET_Lm3ENS5_16DefaultPtrTraitsElEENS_6detail16IndexBoundsCheckILm4ElEESC_Lm4ESD_lEENS7_INS8_ISB_KSC_Lm3ESD_lEESH_SJ_Lm4ESD_lEE.kd
    .uniform_work_group_size: 1
    .uses_dynamic_stack: false
    .vgpr_count:     39
    .vgpr_spill_count: 0
    .wavefront_size: 64
  - .args:
      - .offset:         0
        .size:           4
        .value_kind:     by_value
      - .offset:         4
        .size:           4
        .value_kind:     by_value
      - .offset:         8
        .size:           4
        .value_kind:     by_value
      - .offset:         12
        .size:           1
        .value_kind:     by_value
      - .offset:         16
        .size:           72
        .value_kind:     by_value
      - .offset:         88
        .size:           72
        .value_kind:     by_value
      - .offset:         160
        .size:           4
        .value_kind:     hidden_block_count_x
      - .offset:         164
        .size:           4
        .value_kind:     hidden_block_count_y
      - .offset:         168
        .size:           4
        .value_kind:     hidden_block_count_z
      - .offset:         172
        .size:           2
        .value_kind:     hidden_group_size_x
      - .offset:         174
        .size:           2
        .value_kind:     hidden_group_size_y
      - .offset:         176
        .size:           2
        .value_kind:     hidden_group_size_z
      - .offset:         178
        .size:           2
        .value_kind:     hidden_remainder_x
      - .offset:         180
        .size:           2
        .value_kind:     hidden_remainder_y
      - .offset:         182
        .size:           2
        .value_kind:     hidden_remainder_z
      - .offset:         200
        .size:           8
        .value_kind:     hidden_global_offset_x
      - .offset:         208
        .size:           8
        .value_kind:     hidden_global_offset_y
      - .offset:         216
        .size:           8
        .value_kind:     hidden_global_offset_z
      - .offset:         224
        .size:           2
        .value_kind:     hidden_grid_dims
    .group_segment_fixed_size: 0
    .kernarg_segment_align: 8
    .kernarg_segment_size: 416
    .language:       OpenCL C
    .language_version:
      - 2
      - 0
    .max_flat_workgroup_size: 1024
    .name:           _ZN2at6native12_GLOBAL__N_137upsample_bicubic2d_backward_out_frameIN3c104HalfEfEEviT0_S5_bN5torch10headeronly6detail27GenericPackedTensorAccessorINS8_14TensorAccessorINS3_8ArrayRefIlEET_Lm3ENS7_16DefaultPtrTraitsElEENS_6detail16IndexBoundsCheckILm4ElEESD_Lm4ESE_lEENS9_INSA_ISC_KSD_Lm3ESE_lEESI_SK_Lm4ESE_lEE
    .private_segment_fixed_size: 0
    .sgpr_count:     36
    .sgpr_spill_count: 0
    .symbol:         _ZN2at6native12_GLOBAL__N_137upsample_bicubic2d_backward_out_frameIN3c104HalfEfEEviT0_S5_bN5torch10headeronly6detail27GenericPackedTensorAccessorINS8_14TensorAccessorINS3_8ArrayRefIlEET_Lm3ENS7_16DefaultPtrTraitsElEENS_6detail16IndexBoundsCheckILm4ElEESD_Lm4ESE_lEENS9_INSA_ISC_KSD_Lm3ESE_lEESI_SK_Lm4ESE_lEE.kd
    .uniform_work_group_size: 1
    .uses_dynamic_stack: false
    .vgpr_count:     41
    .vgpr_spill_count: 0
    .wavefront_size: 64
  - .args:
      - .offset:         0
        .size:           4
        .value_kind:     by_value
      - .offset:         4
        .size:           4
        .value_kind:     by_value
      - .offset:         8
        .size:           4
        .value_kind:     by_value
      - .offset:         12
        .size:           1
        .value_kind:     by_value
      - .offset:         16
        .size:           72
        .value_kind:     by_value
      - .offset:         88
        .size:           72
        .value_kind:     by_value
      - .offset:         160
        .size:           4
        .value_kind:     hidden_block_count_x
      - .offset:         164
        .size:           4
        .value_kind:     hidden_block_count_y
      - .offset:         168
        .size:           4
        .value_kind:     hidden_block_count_z
      - .offset:         172
        .size:           2
        .value_kind:     hidden_group_size_x
      - .offset:         174
        .size:           2
        .value_kind:     hidden_group_size_y
      - .offset:         176
        .size:           2
        .value_kind:     hidden_group_size_z
      - .offset:         178
        .size:           2
        .value_kind:     hidden_remainder_x
      - .offset:         180
        .size:           2
        .value_kind:     hidden_remainder_y
      - .offset:         182
        .size:           2
        .value_kind:     hidden_remainder_z
      - .offset:         200
        .size:           8
        .value_kind:     hidden_global_offset_x
      - .offset:         208
        .size:           8
        .value_kind:     hidden_global_offset_y
      - .offset:         216
        .size:           8
        .value_kind:     hidden_global_offset_z
      - .offset:         224
        .size:           2
        .value_kind:     hidden_grid_dims
    .group_segment_fixed_size: 0
    .kernarg_segment_align: 8
    .kernarg_segment_size: 416
    .language:       OpenCL C
    .language_version:
      - 2
      - 0
    .max_flat_workgroup_size: 1024
    .name:           _ZN2at6native12_GLOBAL__N_137upsample_bicubic2d_backward_out_frameIN3c108BFloat16EfEEviT0_S5_bN5torch10headeronly6detail27GenericPackedTensorAccessorINS8_14TensorAccessorINS3_8ArrayRefIlEET_Lm3ENS7_16DefaultPtrTraitsElEENS_6detail16IndexBoundsCheckILm4ElEESD_Lm4ESE_lEENS9_INSA_ISC_KSD_Lm3ESE_lEESI_SK_Lm4ESE_lEE
    .private_segment_fixed_size: 0
    .sgpr_count:     36
    .sgpr_spill_count: 0
    .symbol:         _ZN2at6native12_GLOBAL__N_137upsample_bicubic2d_backward_out_frameIN3c108BFloat16EfEEviT0_S5_bN5torch10headeronly6detail27GenericPackedTensorAccessorINS8_14TensorAccessorINS3_8ArrayRefIlEET_Lm3ENS7_16DefaultPtrTraitsElEENS_6detail16IndexBoundsCheckILm4ElEESD_Lm4ESE_lEENS9_INSA_ISC_KSD_Lm3ESE_lEESI_SK_Lm4ESE_lEE.kd
    .uniform_work_group_size: 1
    .uses_dynamic_stack: false
    .vgpr_count:     44
    .vgpr_spill_count: 0
    .wavefront_size: 64
amdhsa.target:   amdgcn-amd-amdhsa--gfx906
amdhsa.version:
  - 1
  - 2
...

	.end_amdgpu_metadata
